;; amdgpu-corpus repo=ROCm/rccl kind=compiled arch=gfx950 opt=O3
	.amdgcn_target "amdgcn-amd-amdhsa--gfx950"
	.amdhsa_code_object_version 6
	.text
	.p2align	2                               ; -- Begin function _ZN12_GLOBAL__N_17runRingIa7FuncSumIaE7ProtoLLLi0ELi1ELi0EEEviiP15ncclDevWorkColl
	.type	_ZN12_GLOBAL__N_17runRingIa7FuncSumIaE7ProtoLLLi0ELi1ELi0EEEviiP15ncclDevWorkColl,@function
_ZN12_GLOBAL__N_17runRingIa7FuncSumIaE7ProtoLLLi0ELi1ELi0EEEviiP15ncclDevWorkColl: ; @_ZN12_GLOBAL__N_17runRingIa7FuncSumIaE7ProtoLLLi0ELi1ELi0EEEviiP15ncclDevWorkColl
; %bb.0:
	s_waitcnt vmcnt(0) expcnt(0) lgkmcnt(0)
	scratch_store_dword off, v40, s32 offset:4 ; 4-byte Folded Spill
	scratch_store_dword off, v41, s32       ; 4-byte Folded Spill
	s_trap 2
	ds_read_b64 v[4:5], v0
	flat_load_ushort v9, v[2:3] offset:8
	flat_load_dwordx2 v[16:17], v[2:3]
	ds_read_b32 v6, v0
                                        ; implicit-def: $vgpr48_vgpr49
                                        ; implicit-def: $vgpr14_vgpr15
	s_waitcnt lgkmcnt(0)
	flat_load_dwordx2 v[54:55], v[4:5]
                                        ; implicit-def: $vgpr4_vgpr5
	s_waitcnt vmcnt(0)
	v_mov_b32_e32 v8, v17
	v_cmp_ne_u32_sdwa s[0:1], v6, v16 src0_sel:DWORD src1_sel:BYTE_0
	s_and_saveexec_b64 s[2:3], s[0:1]
	s_xor_b64 s[0:1], exec, s[2:3]
	s_cbranch_execz .LBB0_6
; %bb.1:
	v_not_b32_sdwa v10, v16 dst_sel:DWORD dst_unused:UNUSED_PAD src0_sel:BYTE_0
	v_cmp_ne_u32_sdwa s[2:3], v6, v16 src0_sel:DWORD src1_sel:BYTE_1
                                        ; implicit-def: $vgpr48_vgpr49
                                        ; implicit-def: $vgpr4_vgpr5
                                        ; implicit-def: $vgpr14_vgpr15
	s_and_saveexec_b64 s[4:5], s[2:3]
	s_xor_b64 s[2:3], exec, s[4:5]
	s_cbranch_execz .LBB0_3
; %bb.2:
	flat_load_dwordx4 v[18:21], v[2:3] offset:72
	flat_load_dwordx2 v[4:5], v[2:3] offset:96
	v_add_u32_e32 v6, v6, v10
	v_ashrrev_i32_e32 v7, 31, v6
                                        ; implicit-def: $vgpr10
	s_waitcnt vmcnt(0) lgkmcnt(0)
	v_mul_lo_u32 v7, v20, v7
	v_mad_u64_u32 v[14:15], s[4:5], v20, v6, v[18:19]
	v_mul_lo_u32 v6, v21, v6
	v_lshrrev_b64 v[48:49], 21, v[4:5]
	v_add3_u32 v15, v6, v15, v7
	v_mov_b64_e32 v[4:5], v[20:21]
.LBB0_3:
	s_andn2_saveexec_b64 s[2:3], s[2:3]
	s_cbranch_execz .LBB0_5
; %bb.4:
	flat_load_dwordx4 v[18:21], v[2:3] offset:72
	flat_load_dwordx4 v[4:7], v[2:3] offset:88
	s_waitcnt vmcnt(0) lgkmcnt(0)
	v_add_u32_sdwa v6, v16, v10 dst_sel:DWORD dst_unused:UNUSED_PAD src0_sel:BYTE_1 src1_sel:DWORD
	v_ashrrev_i32_e32 v10, 31, v6
	v_mul_lo_u32 v10, v20, v10
	v_mad_u64_u32 v[14:15], s[4:5], v20, v6, v[18:19]
	v_mul_lo_u32 v6, v21, v6
	v_add3_u32 v15, v6, v15, v10
	v_lshrrev_b32_e32 v48, 10, v7
.LBB0_5:
	s_or_b64 exec, exec, s[2:3]
.LBB0_6:
	s_andn2_saveexec_b64 s[0:1], s[0:1]
	s_cbranch_execz .LBB0_8
; %bb.7:
	flat_load_dwordx2 v[4:5], v[2:3] offset:72
	flat_load_dwordx2 v[48:49], v[2:3] offset:96
	v_mov_b64_e32 v[14:15], 0
.LBB0_8:
	s_or_b64 exec, exec, s[0:1]
	flat_load_dwordx4 v[10:13], v[2:3] offset:16
	s_brev_b32 s0, 34
	v_and_b32_e32 v2, 0x44000000, v16
	v_cmp_eq_u32_e64 s[16:17], s0, v2
	v_bfe_u32 v3, v8, 1, 30
	s_nop 0
	v_cndmask_b32_e64 v2, v1, 64, s[16:17]
	v_cmp_ge_i32_e32 vcc, v0, v2
	s_and_saveexec_b64 s[0:1], vcc
	s_xor_b64 s[2:3], exec, s[0:1]
	s_cbranch_execnz .LBB0_11
; %bb.9:
	s_andn2_saveexec_b64 s[18:19], s[2:3]
	s_cbranch_execnz .LBB0_40
.LBB0_10:
	s_or_b64 exec, exec, s[18:19]
	scratch_load_dword v41, off, s32        ; 4-byte Folded Reload
	scratch_load_dword v40, off, s32 offset:4 ; 4-byte Folded Reload
	s_waitcnt vmcnt(0) lgkmcnt(0)
	s_setpc_b64 s[30:31]
.LBB0_11:
	s_waitcnt vmcnt(0) lgkmcnt(0)
	v_cmp_ne_u64_e32 vcc, v[12:13], v[10:11]
	v_cmp_eq_u32_e64 s[0:1], v54, v3
	s_and_b64 s[4:5], vcc, s[0:1]
	s_and_saveexec_b64 s[0:1], s[4:5]
	s_cbranch_execz .LBB0_39
; %bb.12:
	v_sub_u32_e32 v25, v0, v2
	v_ashrrev_i16_e32 v0, 15, v25
	v_lshrrev_b16_e32 v0, 10, v0
	v_add_u16_e32 v0, v25, v0
	v_and_b32_e32 v3, 0xffffffc0, v0
	v_sub_u16_e32 v22, v25, v3
	v_cmp_gt_i16_e32 vcc, 1, v22
	s_mov_b64 s[6:7], 0
	s_and_saveexec_b64 s[4:5], vcc
; %bb.13:
	v_add_u32_e32 v3, v12, v14
	v_add_u32_e32 v6, v10, v14
	v_bitop3_b32 v3, v3, 15, v6 bitop3:0xc8
	v_cmp_ne_u32_e32 vcc, 0, v3
	s_and_b64 s[6:7], vcc, exec
; %bb.14:
	s_or_b64 exec, exec, s[4:5]
	v_sub_u32_e32 v24, v1, v2
	v_cndmask_b32_e64 v1, 0, 1, s[6:7]
	v_cmp_ne_u32_e32 vcc, 0, v1
	s_cbranch_vccz .LBB0_16
; %bb.15:
	s_mov_b64 s[6:7], -1
	v_mov_b64_e32 v[0:1], 0
	s_and_b64 exec, exec, s[6:7]
	s_cbranch_execnz .LBB0_31
	s_branch .LBB0_39
.LBB0_16:
	v_ashrrev_i16_e32 v2, 6, v0
	v_ashrrev_i32_e32 v0, 31, v5
	v_lshrrev_b32_e32 v0, 21, v0
	v_mov_b32_e32 v1, 0
	v_lshl_add_u64 v[0:1], v[4:5], 0, v[0:1]
	v_ashrrev_i64 v[0:1], 11, v[0:1]
	v_bfe_i32 v2, v2, 0, 16
	v_ashrrev_i32_e32 v3, 31, v2
	v_sub_co_u32_e32 v6, vcc, v0, v2
	s_mov_b64 s[6:7], 0
	s_nop 0
	v_subb_co_u32_e32 v7, vcc, v1, v3, vcc
	v_cmp_lt_i64_e32 vcc, 0, v[6:7]
	s_and_saveexec_b64 s[4:5], vcc
	s_cbranch_execz .LBB0_20
; %bb.17:
	v_mov_b32_e32 v3, 4
	v_lshlrev_b32_sdwa v3, v3, sext(v22) dst_sel:DWORD dst_unused:UNUSED_PAD src0_sel:DWORD src1_sel:WORD_0
	v_lshl_add_u32 v16, v2, 11, v3
	v_ashrrev_i16_e32 v2, 15, v24
	v_lshrrev_b16_e32 v2, 10, v2
	v_add_u16_e32 v2, v24, v2
	v_ashrrev_i16_e32 v3, 6, v2
	v_mov_b32_e32 v8, 11
	v_ashrrev_i32_e32 v17, 31, v16
	v_bfe_i32 v2, v3, 0, 16
	v_lshlrev_b32_sdwa v8, v8, sext(v3) dst_sel:DWORD dst_unused:UNUSED_PAD src0_sel:DWORD src1_sel:WORD_0
	v_ashrrev_i32_e32 v3, 31, v2
	v_ashrrev_i32_e32 v9, 31, v8
	v_lshl_add_u64 v[16:17], v[14:15], 0, v[16:17]
.LBB0_18:                               ; =>This Inner Loop Header: Depth=1
	v_lshl_add_u64 v[30:31], v[12:13], 0, v[16:17]
	global_load_dwordx4 v[18:21], v[30:31], off nt
	global_load_dwordx4 v[26:29], v[30:31], off offset:1024 nt
	v_sub_co_u32_e32 v6, vcc, v6, v2
	v_lshl_add_u64 v[30:31], v[10:11], 0, v[16:17]
	s_nop 0
	v_subb_co_u32_e32 v7, vcc, v7, v3, vcc
	v_cmp_gt_i64_e32 vcc, 1, v[6:7]
	v_lshl_add_u64 v[16:17], v[16:17], 0, v[8:9]
	s_or_b64 s[6:7], vcc, s[6:7]
	s_waitcnt vmcnt(1)
	global_store_dwordx4 v[30:31], v[18:21], off
	s_waitcnt vmcnt(1)
	global_store_dwordx4 v[30:31], v[26:29], off offset:1024
	s_andn2_b64 exec, exec, s[6:7]
	s_cbranch_execnz .LBB0_18
; %bb.19:
	s_or_b64 exec, exec, s[6:7]
.LBB0_20:
	s_or_b64 exec, exec, s[4:5]
	v_lshlrev_b64 v[8:9], 11, v[0:1]
	v_cmp_ne_u64_e32 vcc, v[4:5], v[8:9]
	s_mov_b64 s[6:7], 0
	v_mov_b64_e32 v[0:1], 0
                                        ; implicit-def: $vgpr2_vgpr3
                                        ; implicit-def: $vgpr25
	s_and_saveexec_b64 s[4:5], vcc
	s_cbranch_execz .LBB0_30
; %bb.21:
	v_sub_co_u32_e32 v16, vcc, v4, v8
	v_mov_b32_e32 v21, 0
	s_nop 0
	v_subb_co_u32_e32 v17, vcc, v5, v9, vcc
	v_ashrrev_i32_e32 v0, 31, v17
	v_lshrrev_b32_e32 v20, 22, v0
	v_lshl_add_u64 v[2:3], v[16:17], 0, v[20:21]
	v_ashrrev_i64 v[18:19], 10, v[2:3]
	v_and_b32_e32 v2, 0xfffffc00, v2
	v_lshl_add_u64 v[0:1], v[2:3], 0, v[8:9]
	v_sub_co_u32_e32 v2, vcc, v16, v2
	s_nop 1
	v_subb_co_u32_e32 v3, vcc, v17, v3, vcc
	v_cmp_lt_i64_e32 vcc, 15, v[2:3]
	s_and_saveexec_b64 s[6:7], vcc
; %bb.22:
	v_and_b32_e32 v20, 15, v4
	v_sub_co_u32_e32 v2, vcc, v2, v20
	v_lshl_add_u64 v[18:19], v[18:19], 0, 1
	s_nop 0
	v_subbrev_co_u32_e32 v3, vcc, 0, v3, vcc
	v_lshl_add_u64 v[0:1], v[2:3], 0, v[0:1]
	v_mov_b64_e32 v[2:3], v[20:21]
; %bb.23:
	s_or_b64 exec, exec, s[6:7]
	v_lshlrev_b32_e32 v4, 6, v6
	v_sub_u32_sdwa v4, sext(v22), v4 dst_sel:DWORD dst_unused:UNUSED_PAD src0_sel:WORD_0 src1_sel:DWORD
	v_ashrrev_i32_e32 v5, 31, v4
	v_lshrrev_b32_e32 v5, 26, v5
	v_add_u32_e32 v5, v4, v5
	v_ashrrev_i32_e32 v23, 6, v5
	v_and_b32_e32 v5, 0xffffffc0, v5
	v_sub_u32_e32 v22, v4, v5
	v_lshlrev_b32_e32 v4, 4, v22
	v_lshl_add_u32 v20, v23, 10, v4
	v_ashrrev_i32_e32 v21, 31, v20
	v_sub_co_u32_e32 v6, vcc, v16, v20
	v_ashrrev_i32_e32 v5, 31, v23
	s_nop 0
	v_subb_co_u32_e32 v7, vcc, v17, v21, vcc
	v_sub_co_u32_e32 v4, vcc, v18, v23
	s_nop 1
	v_subb_co_u32_e32 v5, vcc, v19, v5, vcc
	v_cmp_lt_i64_e32 vcc, 15, v[6:7]
	s_and_saveexec_b64 s[6:7], vcc
	s_cbranch_execz .LBB0_27
; %bb.24:
	v_ashrrev_i16_e32 v16, 15, v24
	v_lshrrev_b16_e32 v16, 10, v16
	v_add_u16_e32 v16, v24, v16
	v_ashrrev_i16_e32 v17, 6, v16
	v_mov_b32_e32 v18, 10
	v_bfe_i32 v16, v17, 0, 16
	v_lshlrev_b32_sdwa v18, v18, sext(v17) dst_sel:DWORD dst_unused:UNUSED_PAD src0_sel:DWORD src1_sel:WORD_0
	v_lshl_add_u64 v[8:9], v[14:15], 0, v[8:9]
	v_ashrrev_i32_e32 v19, 31, v18
	v_ashrrev_i32_e32 v17, 31, v16
	v_lshl_add_u64 v[8:9], v[8:9], 0, v[20:21]
	s_mov_b64 s[10:11], 0
.LBB0_25:                               ; =>This Inner Loop Header: Depth=1
	v_lshl_add_u64 v[20:21], v[12:13], 0, v[8:9]
	global_load_dwordx4 v[26:29], v[20:21], off nt
	v_sub_co_u32_e32 v6, vcc, v6, v18
	v_lshl_add_u64 v[20:21], v[10:11], 0, v[8:9]
	s_nop 0
	v_subb_co_u32_e32 v7, vcc, v7, v19, vcc
	v_sub_co_u32_e32 v4, vcc, v4, v16
	v_lshl_add_u64 v[8:9], v[8:9], 0, v[18:19]
	s_nop 0
	v_subb_co_u32_e32 v5, vcc, v5, v17, vcc
	v_cmp_gt_i64_e32 vcc, 16, v[6:7]
	s_or_b64 s[10:11], vcc, s[10:11]
	s_waitcnt vmcnt(0)
	global_store_dwordx4 v[20:21], v[26:29], off
	s_andn2_b64 exec, exec, s[10:11]
	s_cbranch_execnz .LBB0_25
; %bb.26:
	s_or_b64 exec, exec, s[10:11]
.LBB0_27:
	s_or_b64 exec, exec, s[6:7]
	v_cmp_lt_i64_e32 vcc, 0, v[4:5]
	s_and_saveexec_b64 s[6:7], vcc
; %bb.28:
	v_ashrrev_i16_e32 v5, 15, v24
	v_lshrrev_b16_e32 v5, 10, v5
	v_add_u16_e32 v5, v24, v5
	v_ashrrev_i16_e32 v5, 6, v5
	v_bfe_i32 v5, v5, 0, 16
	v_sub_co_u32_e32 v4, vcc, v4, v5
; %bb.29:
	s_or_b64 exec, exec, s[6:7]
	v_lshlrev_b32_e32 v4, 6, v4
	v_cmp_ne_u64_e32 vcc, 0, v[2:3]
	v_sub_u32_e32 v25, v22, v4
	s_and_b64 s[6:7], vcc, exec
.LBB0_30:
	s_or_b64 exec, exec, s[4:5]
	v_mov_b64_e32 v[4:5], v[2:3]
	s_and_b64 exec, exec, s[6:7]
	s_cbranch_execz .LBB0_39
.LBB0_31:
	v_ashrrev_i32_e32 v2, 31, v25
	v_lshrrev_b32_e32 v2, 26, v2
	v_add_u32_e32 v8, v25, v2
	v_ashrrev_i32_e32 v2, 31, v5
	v_lshrrev_b32_e32 v2, 23, v2
	v_mov_b32_e32 v3, 0
	v_lshl_add_u64 v[2:3], v[4:5], 0, v[2:3]
	v_ashrrev_i32_e32 v26, 6, v8
	v_ashrrev_i64 v[6:7], 9, v[2:3]
	v_ashrrev_i32_e32 v3, 31, v26
	v_sub_co_u32_e32 v2, vcc, v6, v26
	s_mov_b64 s[6:7], 0
	s_nop 0
	v_subb_co_u32_e32 v3, vcc, v7, v3, vcc
	v_cmp_lt_i64_e32 vcc, 0, v[2:3]
	s_and_saveexec_b64 s[4:5], vcc
	s_cbranch_execz .LBB0_35
; %bb.32:
	v_ashrrev_i16_e32 v16, 15, v24
	v_lshrrev_b16_e32 v16, 10, v16
	v_and_b32_e32 v8, 0xffffffc0, v8
	v_add_u16_e32 v16, v24, v16
	v_sub_u32_e32 v8, v25, v8
	v_ashrrev_i16_e32 v17, 6, v16
	v_mov_b32_e32 v18, 9
	v_lshl_add_u32 v8, v26, 9, v8
	v_bfe_i32 v16, v17, 0, 16
	v_lshlrev_b32_sdwa v18, v18, sext(v17) dst_sel:DWORD dst_unused:UNUSED_PAD src0_sel:DWORD src1_sel:WORD_0
	v_lshl_add_u64 v[22:23], v[14:15], 0, v[0:1]
	v_ashrrev_i32_e32 v9, 31, v8
	v_ashrrev_i32_e32 v17, 31, v16
	;; [unrolled: 1-line block ×3, first 2 shown]
	v_lshl_add_u64 v[20:21], v[22:23], 0, v[12:13]
	v_lshl_add_u64 v[22:23], v[22:23], 0, v[10:11]
.LBB0_33:                               ; =>This Inner Loop Header: Depth=1
	v_lshl_add_u64 v[28:29], v[8:9], 0, v[20:21]
	flat_load_ubyte v27, v[28:29] nt
	flat_load_ubyte v30, v[28:29] offset:64 nt
	flat_load_ubyte v31, v[28:29] offset:128 nt
	;; [unrolled: 1-line block ×7, first 2 shown]
	v_sub_co_u32_e32 v2, vcc, v2, v16
	v_lshl_add_u64 v[28:29], v[8:9], 0, v[22:23]
	s_nop 0
	v_subb_co_u32_e32 v3, vcc, v3, v17, vcc
	v_cmp_gt_i64_e32 vcc, 1, v[2:3]
	v_lshl_add_u64 v[20:21], v[20:21], 0, v[18:19]
	v_lshl_add_u64 v[22:23], v[22:23], 0, v[18:19]
	s_or_b64 s[6:7], vcc, s[6:7]
	s_waitcnt vmcnt(0) lgkmcnt(0)
	flat_store_byte v[28:29], v27 nt
	flat_store_byte v[28:29], v30 offset:64 nt
	flat_store_byte v[28:29], v31 offset:128 nt
	;; [unrolled: 1-line block ×7, first 2 shown]
	s_andn2_b64 exec, exec, s[6:7]
	s_cbranch_execnz .LBB0_33
; %bb.34:
	s_or_b64 exec, exec, s[6:7]
.LBB0_35:
	s_or_b64 exec, exec, s[4:5]
	v_lshlrev_b64 v[6:7], 9, v[6:7]
	v_cmp_ne_u64_e32 vcc, v[4:5], v[6:7]
	s_and_b64 exec, exec, vcc
	s_cbranch_execz .LBB0_39
; %bb.36:
	v_lshlrev_b32_e32 v3, 6, v26
	v_sub_u32_e32 v3, v25, v3
	v_lshlrev_b32_e32 v2, 6, v2
	v_sub_u32_e32 v8, v3, v2
	v_ashrrev_i32_e32 v9, 31, v8
	v_lshl_add_u64 v[2:3], v[6:7], 0, v[8:9]
	v_sub_co_u32_e32 v2, vcc, v4, v2
	s_mov_b64 s[4:5], 0
	s_nop 0
	v_subb_co_u32_e32 v3, vcc, v5, v3, vcc
	v_cmp_lt_i64_e32 vcc, 0, v[2:3]
	s_and_b64 exec, exec, vcc
	s_cbranch_execz .LBB0_39
; %bb.37:
	v_ashrrev_i16_e32 v4, 15, v24
	v_lshrrev_b16_e32 v4, 10, v4
	v_add_u16_e32 v4, v24, v4
	v_ashrrev_i16_e32 v4, 6, v4
	v_mov_b32_e32 v5, 6
	v_lshl_add_u64 v[0:1], v[14:15], 0, v[0:1]
	v_lshlrev_b32_sdwa v4, v5, sext(v4) dst_sel:DWORD dst_unused:UNUSED_PAD src0_sel:DWORD src1_sel:WORD_0
	v_lshl_add_u64 v[0:1], v[0:1], 0, v[6:7]
	v_ashrrev_i32_e32 v5, 31, v4
	v_lshl_add_u64 v[0:1], v[0:1], 0, v[8:9]
.LBB0_38:                               ; =>This Inner Loop Header: Depth=1
	v_lshl_add_u64 v[6:7], v[12:13], 0, v[0:1]
	flat_load_ubyte v8, v[6:7] nt
	v_sub_co_u32_e32 v2, vcc, v2, v4
	v_lshl_add_u64 v[6:7], v[10:11], 0, v[0:1]
	s_nop 0
	v_subb_co_u32_e32 v3, vcc, v3, v5, vcc
	v_cmp_gt_i64_e32 vcc, 1, v[2:3]
	v_lshl_add_u64 v[0:1], v[0:1], 0, v[4:5]
	s_or_b64 s[4:5], vcc, s[4:5]
	s_waitcnt vmcnt(0) lgkmcnt(0)
	flat_store_byte v[6:7], v8 nt
	s_andn2_b64 exec, exec, s[4:5]
	s_cbranch_execnz .LBB0_38
.LBB0_39:
	s_or_b64 exec, exec, s[0:1]
                                        ; implicit-def: $vgpr54_vgpr55
                                        ; implicit-def: $vgpr14_vgpr15
                                        ; implicit-def: $vgpr4_vgpr5
                                        ; implicit-def: $vgpr48_vgpr49
                                        ; implicit-def: $vgpr3
                                        ; implicit-def: $vgpr2
                                        ; implicit-def: $vgpr0
                                        ; implicit-def: $vgpr31
                                        ; implicit-def: $vgpr12_vgpr13
                                        ; implicit-def: $vgpr8_vgpr9
	s_andn2_saveexec_b64 s[18:19], s[2:3]
	s_cbranch_execz .LBB0_10
.LBB0_40:
	s_load_dword s0, s[8:9], 0x0
	v_mov_b32_e32 v39, 0
	v_lshrrev_b64 v[6:7], 31, v[8:9]
	v_ashrrev_i32_e32 v1, 31, v0
	v_and_b32_e32 v24, 3, v6
	s_waitcnt lgkmcnt(0)
	s_cmp_lt_u32 s12, s0
	s_cselect_b32 s0, 12, 18
	s_add_u32 s0, s8, s0
	s_addc_u32 s1, s9, 0
	global_load_ushort v30, v39, s[0:1]
	s_trap 2
	ds_read_b32 v38, v0
	v_lshrrev_b32_e32 v6, 26, v1
	v_add_u32_e32 v6, v0, v6
	v_and_b32_e32 v6, 0xffffffc0, v6
	v_sub_u32_e32 v28, v0, v6
	s_waitcnt lgkmcnt(0)
	v_cmp_gt_i32_e32 vcc, 0, v38
	s_mov_b32 s2, 0
	v_mov_b64_e32 v[16:17], 0
	v_cmp_eq_u32_e64 s[0:1], 0, v28
	s_cbranch_vccnz .LBB0_42
; %bb.41:
	s_trap 2
	ds_read_b64 v[6:7], v0
	v_lshlrev_b64 v[8:9], 3, v[38:39]
	s_movk_i32 s2, 0xa8
	s_waitcnt lgkmcnt(0)
	v_lshl_add_u64 v[6:7], v[6:7], 0, v[8:9]
	flat_load_dwordx2 v[6:7], v[6:7]
	v_and_b32_e32 v8, 0xffff, v24
	s_waitcnt vmcnt(0) lgkmcnt(0)
	v_mad_u64_u32 v[6:7], s[2:3], v8, s2, v[6:7]
	flat_load_dwordx2 v[20:21], v[6:7] offset:504
	flat_load_dwordx2 v[22:23], v[6:7] offset:608
	s_mov_b64 s[2:3], 0x1f8
	v_lshl_add_u64 v[18:19], v[6:7], 0, s[2:3]
	v_cndmask_b32_e64 v9, 0, v19, s[0:1]
	v_cndmask_b32_e64 v8, 0, v18, s[0:1]
	s_mov_b32 s2, 1
	s_branch .LBB0_43
.LBB0_42:
	v_mov_b64_e32 v[18:19], 0
                                        ; implicit-def: $vgpr22_vgpr23
                                        ; implicit-def: $vgpr20_vgpr21
	v_mov_b64_e32 v[8:9], 0
.LBB0_43:
	s_trap 2
	ds_read_b32 v6, v0
	s_waitcnt lgkmcnt(0)
	v_cmp_gt_i32_e32 vcc, 0, v6
	s_cbranch_vccnz .LBB0_45
; %bb.44:
	s_trap 2
	ds_read_b64 v[16:17], v0
	v_mov_b32_e32 v7, 0
	v_lshlrev_b64 v[6:7], 3, v[6:7]
	s_movk_i32 s0, 0xa8
	v_cmp_eq_u32_e32 vcc, 0, v28
	s_waitcnt lgkmcnt(0)
	v_lshl_add_u64 v[6:7], v[16:17], 0, v[6:7]
	flat_load_dwordx2 v[6:7], v[6:7]
	v_and_b32_e32 v16, 0xffff, v24
	s_waitcnt vmcnt(0) lgkmcnt(0)
	v_mad_u64_u32 v[16:17], s[0:1], v16, s0, v[6:7]
	flat_load_dwordx2 v[24:25], v[16:17]
	flat_load_dwordx2 v[26:27], v[16:17] offset:104
	v_cndmask_b32_e32 v35, 0, v17, vcc
	v_cndmask_b32_e32 v34, 0, v16, vcc
	s_branch .LBB0_46
.LBB0_45:
                                        ; implicit-def: $vgpr26_vgpr27
                                        ; implicit-def: $vgpr24_vgpr25
	v_mov_b64_e32 v[34:35], 0
.LBB0_46:
	v_subrev_u32_e32 v6, 64, v2
	v_cmp_ge_i32_e32 vcc, v0, v6
	v_cmp_gt_i32_e64 s[0:1], s2, v28
	s_and_b64 s[20:21], vcc, s[0:1]
	v_mov_b64_e32 v[6:7], 0
	v_mov_b64_e32 v[32:33], 0
                                        ; implicit-def: $vgpr28_vgpr29
	s_and_saveexec_b64 s[0:1], s[20:21]
	s_cbranch_execz .LBB0_48
; %bb.47:
	flat_load_dwordx2 v[32:33], v[8:9] offset:56
	flat_load_dwordx2 v[28:29], v[8:9] offset:104
.LBB0_48:
	s_or_b64 exec, exec, s[0:1]
	v_cmp_gt_i32_e64 s[0:1], s2, v0
	v_mov_b64_e32 v[36:37], 0
                                        ; implicit-def: $vgpr52_vgpr53
	s_and_saveexec_b64 s[2:3], s[0:1]
	s_cbranch_execz .LBB0_50
; %bb.49:
	flat_load_dwordx2 v[36:37], v[34:35] offset:56
	s_waitcnt vmcnt(0) lgkmcnt(0)
	flat_load_dwordx2 v[52:53], v[36:37] sc0 sc1
	s_waitcnt vmcnt(0)
	flat_load_dwordx4 v[6:9], v[34:35] offset:96
.LBB0_50:
	s_or_b64 exec, exec, s[2:3]
	v_mov_b64_e32 v[34:35], 0
	s_waitcnt vmcnt(0)
	v_cmp_ne_u64_e32 vcc, 0, v[4:5]
	s_and_saveexec_b64 s[22:23], vcc
	s_cbranch_execnz .LBB0_54
; %bb.51:
	s_or_b64 exec, exec, s[22:23]
	s_and_saveexec_b64 s[2:3], s[20:21]
	s_cbranch_execnz .LBB0_327
.LBB0_52:
	s_or_b64 exec, exec, s[2:3]
	s_and_saveexec_b64 s[2:3], s[0:1]
	s_cbranch_execnz .LBB0_328
.LBB0_53:
	s_or_b64 exec, exec, s[2:3]
	v_cmp_ne_u32_e32 vcc, 64, v2
	s_and_saveexec_b64 s[0:1], vcc
	s_cbranch_execnz .LBB0_329
	s_branch .LBB0_346
.LBB0_54:
	v_ashrrev_i32_e32 v34, 31, v38
	v_lshrrev_b32_e32 v34, 29, v34
	v_add_u32_e32 v34, v38, v34
	v_ashrrev_i32_e32 v114, 7, v34
	v_lshlrev_b32_e32 v34, 4, v48
	v_and_b32_e32 v38, 0x1fffff0, v34
	v_cvt_f64_u32_e32 v[34:35], 0
	v_lshlrev_b32_e32 v64, 3, v0
	v_ldexp_f64 v[34:35], v[34:35], 32
	v_cvt_f64_u32_e32 v[50:51], v38
	v_ashrrev_i32_e32 v65, 31, v64
	v_mov_b32_e32 v49, 0
	v_add_f64 v[50:51], v[34:35], v[50:51]
	v_cmp_ne_u32_e64 s[2:3], v54, v3
	v_cmp_ne_u32_e64 s[4:5], v55, v3
	v_and_b32_e32 v3, 63, v31
	v_lshl_add_u64 v[34:35], v[14:15], 0, v[64:65]
	v_cmp_eq_u32_e64 s[12:13], 0, v3
	v_cmp_ne_u64_e32 vcc, v[12:13], v[10:11]
	s_xor_b64 s[16:17], s[16:17], -1
	v_mov_b32_e32 v3, v49
	v_lshl_add_u64 v[80:81], v[34:35], 0, v[12:13]
	v_and_b32_e32 v12, 0x1fffff, v48
	v_mov_b32_e32 v39, v49
	s_mov_b64 s[24:25], 0
	v_cmp_ne_u64_e64 s[6:7], 0, v[36:37]
	s_waitcnt lgkmcnt(0)
	v_cmp_ne_u64_e64 s[8:9], 0, v[6:7]
	v_cmp_ne_u32_e64 s[10:11], 64, v2
	v_cmp_ne_u32_sdwa s[26:27], v2, v30 src0_sel:DWORD src1_sel:WORD_0
	v_lshrrev_b32_e32 v54, 6, v2
	v_mov_b32_e32 v55, v49
	v_lshlrev_b32_e32 v66, 3, v2
	v_lshl_add_u64 v[68:69], v[10:11], 0, v[64:65]
	v_mov_b32_e32 v67, v49
	v_cmp_ne_u64_e64 s[14:15], 0, v[32:33]
	s_and_b64 s[28:29], s[16:17], vcc
	v_lshlrev_b64 v[70:71], 4, v[2:3]
	v_not_b32_e32 v3, v64
	v_lshlrev_b32_e32 v65, 3, v80
	v_lshlrev_b32_e32 v115, 7, v12
	;; [unrolled: 1-line block ×3, first 2 shown]
	v_lshl_add_u64 v[82:83], v[10:11], 0, v[34:35]
	v_lshl_add_u64 v[84:85], v[0:1], 4, v[24:25]
	v_mov_b64_e32 v[86:87], 0
	v_mov_b64_e32 v[34:35], 0
	s_mov_b64 s[40:41], 0x7ffffff8
	v_mov_b32_e32 v117, 1
	v_mov_b32_e32 v118, 0
	s_branch .LBB0_58
.LBB0_55:                               ;   in Loop: Header=BB0_58 Depth=1
	s_or_b64 exec, exec, s[16:17]
	v_lshl_add_u64 v[26:27], v[26:27], 0, 1
.LBB0_56:                               ;   in Loop: Header=BB0_58 Depth=1
	s_or_b64 exec, exec, s[44:45]
.LBB0_57:                               ;   in Loop: Header=BB0_58 Depth=1
	s_or_b64 exec, exec, s[42:43]
	v_lshl_add_u64 v[86:87], v[86:87], 0, v[38:39]
	v_cmp_ge_u64_e32 vcc, v[86:87], v[4:5]
	v_lshl_add_u64 v[80:81], v[80:81], 0, v[38:39]
	v_add_u32_e32 v65, v65, v115
	s_or_b64 s[24:25], vcc, s[24:25]
	v_lshl_add_u64 v[82:83], v[82:83], 0, v[38:39]
	s_andn2_b64 exec, exec, s[24:25]
	s_cbranch_execz .LBB0_326
.LBB0_58:                               ; =>This Loop Header: Depth=1
                                        ;     Child Loop BB0_65 Depth 2
                                        ;     Child Loop BB0_84 Depth 2
	;; [unrolled: 1-line block ×3, first 2 shown]
                                        ;       Child Loop BB0_128 Depth 3
                                        ;     Child Loop BB0_194 Depth 2
                                        ;     Child Loop BB0_101 Depth 2
	;; [unrolled: 1-line block ×3, first 2 shown]
                                        ;       Child Loop BB0_160 Depth 3
                                        ;     Child Loop BB0_206 Depth 2
                                        ;     Child Loop BB0_116 Depth 2
	;; [unrolled: 1-line block ×9, first 2 shown]
	v_sub_co_u32_e32 v1, vcc, v4, v86
	s_waitcnt vmcnt(0)
	v_cvt_f64_u32_e32 v[12:13], v1
	v_subb_co_u32_e32 v10, vcc, v5, v87, vcc
	v_cvt_f64_u32_e32 v[10:11], v10
	v_ldexp_f64 v[10:11], v[10:11], 32
	v_add_f64 v[10:11], v[10:11], v[12:13]
	v_max_f64 v[12:13], v[50:51], v[50:51]
	v_min_f64 v[10:11], v[12:13], v[10:11]
	v_cvt_i32_f64_e32 v1, v[10:11]
	v_max_i32_e32 v1, 0, v1
	s_and_saveexec_b64 s[16:17], s[2:3]
	s_xor_b64 s[42:43], exec, s[16:17]
	s_cbranch_execz .LBB0_109
; %bb.59:                               ;   in Loop: Header=BB0_58 Depth=1
	v_lshl_add_u64 v[10:11], v[86:87], 0, v[14:15]
	s_and_saveexec_b64 s[16:17], s[4:5]
	s_xor_b64 s[44:45], exec, s[16:17]
	s_cbranch_execz .LBB0_103
; %bb.60:                               ;   in Loop: Header=BB0_58 Depth=1
	s_and_saveexec_b64 s[46:47], s[6:7]
	s_cbranch_execz .LBB0_76
; %bb.61:                               ;   in Loop: Header=BB0_58 Depth=1
	v_lshl_add_u64 v[12:13], v[8:9], 0, 1
	s_waitcnt lgkmcnt(0)
	v_lshl_add_u64 v[96:97], v[52:53], 0, 8
	v_cmp_lt_u64_e32 vcc, v[96:97], v[12:13]
	s_and_saveexec_b64 s[56:57], vcc
	s_cbranch_execz .LBB0_73
; %bb.62:                               ;   in Loop: Header=BB0_58 Depth=1
	s_mov_b32 s92, 0
	v_cmp_eq_u32_e32 vcc, 0, v118
	s_mov_b64 s[58:59], 0
                                        ; implicit-def: $sgpr60_sgpr61
                                        ; implicit-def: $sgpr62_sgpr63
                                        ; implicit-def: $sgpr72_sgpr73
	s_branch .LBB0_65
.LBB0_63:                               ;   in Loop: Header=BB0_65 Depth=2
	s_or_b64 exec, exec, s[90:91]
	s_andn2_b64 s[16:17], s[72:73], exec
	s_and_b64 s[72:73], s[78:79], exec
	s_or_b64 s[72:73], s[16:17], s[72:73]
	s_andn2_b64 s[16:17], s[62:63], exec
	s_and_b64 s[62:63], s[76:77], exec
	s_or_b64 s[62:63], s[16:17], s[62:63]
.LBB0_64:                               ;   in Loop: Header=BB0_65 Depth=2
	s_or_b64 exec, exec, s[74:75]
	s_and_b64 s[16:17], exec, s[62:63]
	s_or_b64 s[58:59], s[16:17], s[58:59]
	s_andn2_b64 s[16:17], s[60:61], exec
	s_and_b64 s[60:61], s[72:73], exec
	s_or_b64 s[60:61], s[16:17], s[60:61]
	s_andn2_b64 exec, exec, s[58:59]
	s_cbranch_execz .LBB0_70
.LBB0_65:                               ;   Parent Loop BB0_58 Depth=1
                                        ; =>  This Inner Loop Header: Depth=2
	s_sleep 1
	s_waitcnt vmcnt(0) lgkmcnt(0)
	flat_load_dwordx2 v[52:53], v[36:37] sc1
	v_mov_b32_e32 v118, 1
	s_or_b64 s[72:73], s[72:73], exec
	s_or_b64 s[62:63], s[62:63], exec
                                        ; implicit-def: $vgpr9
	s_and_saveexec_b64 s[74:75], vcc
	s_cbranch_execz .LBB0_64
; %bb.66:                               ;   in Loop: Header=BB0_65 Depth=2
	s_add_i32 s92, s92, 1
	s_cmpk_lg_i32 s92, 0x2710
	s_cselect_b64 s[88:89], -1, 0
	s_cmpk_eq_i32 s92, 0x2710
	s_mov_b64 s[76:77], -1
	s_mov_b64 s[78:79], -1
                                        ; implicit-def: $vgpr9
	s_cbranch_scc1 .LBB0_68
; %bb.67:                               ;   in Loop: Header=BB0_65 Depth=2
	v_mov_b32_e32 v118, 1
	s_and_saveexec_b64 s[90:91], s[88:89]
	s_cbranch_execz .LBB0_63
	s_branch .LBB0_69
.LBB0_68:                               ;   in Loop: Header=BB0_65 Depth=2
	s_trap 2
	ds_read_b64 v[96:97], v0
	s_andn2_b64 s[88:89], s[88:89], exec
	s_mov_b32 s92, 0
	s_mov_b64 s[78:79], 0
	s_waitcnt vmcnt(0) lgkmcnt(0)
	flat_load_dword v9, v[96:97] sc0 sc1
	s_waitcnt vmcnt(0) lgkmcnt(0)
	buffer_inv sc0 sc1
	v_cmp_eq_u32_e64 s[16:17], 0, v9
	s_and_b64 s[16:17], s[16:17], exec
	s_or_b64 s[88:89], s[88:89], s[16:17]
	v_mov_b32_e32 v118, 1
	s_and_saveexec_b64 s[90:91], s[88:89]
	s_cbranch_execz .LBB0_63
.LBB0_69:                               ;   in Loop: Header=BB0_65 Depth=2
	s_waitcnt vmcnt(0) lgkmcnt(0)
	v_lshl_add_u64 v[96:97], v[52:53], 0, 8
	v_cmp_ge_u64_e64 s[16:17], v[96:97], v[12:13]
	v_mov_b32_e32 v118, 0
	s_or_b64 s[78:79], s[78:79], exec
	s_orn2_b64 s[76:77], s[16:17], exec
	s_branch .LBB0_63
.LBB0_70:                               ;   in Loop: Header=BB0_58 Depth=1
	s_or_b64 exec, exec, s[58:59]
	s_xor_b64 s[16:17], s[60:61], -1
	s_and_saveexec_b64 s[58:59], s[16:17]
	s_xor_b64 s[16:17], exec, s[58:59]
	s_cbranch_execz .LBB0_72
; %bb.71:                               ;   in Loop: Header=BB0_58 Depth=1
	v_mov_b32_e32 v118, 1
	s_waitcnt lgkmcnt(0)
	ds_write_b32 v0, v9
	s_trap 2
.LBB0_72:                               ;   in Loop: Header=BB0_58 Depth=1
	s_or_b64 exec, exec, s[16:17]
.LBB0_73:                               ;   in Loop: Header=BB0_58 Depth=1
	s_or_b64 exec, exec, s[56:57]
	s_and_saveexec_b64 s[16:17], s[8:9]
	s_cbranch_execz .LBB0_75
; %bb.74:                               ;   in Loop: Header=BB0_58 Depth=1
	v_add_u32_e32 v9, 7, v1
	v_ashrrev_i32_e32 v48, 31, v9
	v_lshrrev_b32_e32 v48, 29, v48
	v_add_u32_e32 v9, v9, v48
	v_and_b32_e32 v48, 0x7ffffff8, v8
	v_lshrrev_b32_e32 v9, 3, v9
	v_cmp_eq_u64_e32 vcc, s[40:41], v[48:49]
	v_and_b32_e32 v8, 7, v8
	s_nop 0
	v_cndmask_b32_e32 v9, v9, v114, vcc
	v_lshlrev_b32_e32 v96, 4, v9
	v_ashrrev_i32_e32 v97, 31, v96
	v_mad_u64_u32 v[8:9], s[56:57], v8, 24, v[6:7]
	flat_store_dwordx2 v[8:9], v[96:97] offset:8 sc0 sc1
	s_waitcnt vmcnt(0)
.LBB0_75:                               ;   in Loop: Header=BB0_58 Depth=1
	s_or_b64 exec, exec, s[16:17]
	v_mov_b64_e32 v[8:9], v[12:13]
.LBB0_76:                               ;   in Loop: Header=BB0_58 Depth=1
	s_or_b64 exec, exec, s[46:47]
	s_and_saveexec_b64 s[16:17], s[10:11]
	s_cbranch_execz .LBB0_95
; %bb.77:                               ;   in Loop: Header=BB0_58 Depth=1
	s_and_saveexec_b64 s[46:47], s[26:27]
	s_xor_b64 s[46:47], exec, s[46:47]
	s_cbranch_execz .LBB0_92
; %bb.78:                               ;   in Loop: Header=BB0_58 Depth=1
	s_and_saveexec_b64 s[56:57], s[12:13]
	s_cbranch_execz .LBB0_91
; %bb.79:                               ;   in Loop: Header=BB0_58 Depth=1
	s_mov_b64 s[60:61], exec
	v_mbcnt_lo_u32_b32 v12, s60, 0
	v_mbcnt_hi_u32_b32 v12, s61, v12
	v_cmp_eq_u32_e32 vcc, 0, v12
	buffer_wbl2 sc1
	s_waitcnt vmcnt(0) lgkmcnt(0)
	buffer_inv sc1
	s_and_saveexec_b64 s[58:59], vcc
	s_cbranch_execz .LBB0_81
; %bb.80:                               ;   in Loop: Header=BB0_58 Depth=1
	s_bcnt1_i32_b64 s60, s[60:61]
	v_mov_b32_e32 v48, s60
	ds_add_u64 v0, v[48:49]
	s_trap 2
.LBB0_81:                               ;   in Loop: Header=BB0_58 Depth=1
	s_or_b64 exec, exec, s[58:59]
	s_trap 2
	ds_read_b64 v[12:13], v0
	s_waitcnt lgkmcnt(0)
	v_lshl_add_u64 v[34:35], v[34:35], 0, v[54:55]
	v_cmp_lt_u64_e32 vcc, v[12:13], v[34:35]
	s_and_saveexec_b64 s[58:59], vcc
	s_cbranch_execz .LBB0_90
; %bb.82:                               ;   in Loop: Header=BB0_58 Depth=1
	s_mov_b32 s88, 0
	s_mov_b64 s[60:61], 0
                                        ; implicit-def: $sgpr62_sgpr63
                                        ; implicit-def: $sgpr72_sgpr73
	s_branch .LBB0_84
.LBB0_83:                               ;   in Loop: Header=BB0_84 Depth=2
	s_or_b64 exec, exec, s[76:77]
	s_and_b64 s[74:75], exec, s[78:79]
	s_or_b64 s[60:61], s[74:75], s[60:61]
	s_andn2_b64 s[62:63], s[62:63], exec
	s_and_b64 s[74:75], s[72:73], exec
	s_or_b64 s[62:63], s[62:63], s[74:75]
	s_andn2_b64 exec, exec, s[60:61]
	s_cbranch_execz .LBB0_88
.LBB0_84:                               ;   Parent Loop BB0_58 Depth=1
                                        ; =>  This Inner Loop Header: Depth=2
	s_add_i32 s88, s88, 1
	s_cmpk_lg_i32 s88, 0x2710
	s_cselect_b64 s[74:75], -1, 0
	s_and_b64 vcc, exec, s[74:75]
	s_cbranch_vccz .LBB0_86
; %bb.85:                               ;   in Loop: Header=BB0_84 Depth=2
	s_mov_b64 s[78:79], -1
	s_or_b64 s[72:73], s[72:73], exec
	s_and_saveexec_b64 s[76:77], s[74:75]
	s_cbranch_execz .LBB0_83
	s_branch .LBB0_87
.LBB0_86:                               ;   in Loop: Header=BB0_84 Depth=2
	s_trap 2
	ds_read_b64 v[12:13], v0
	s_andn2_b64 s[74:75], s[74:75], exec
	s_mov_b32 s88, 0
	s_waitcnt lgkmcnt(0)
	flat_load_dword v12, v[12:13] sc0 sc1
	s_waitcnt vmcnt(0) lgkmcnt(0)
	buffer_inv sc0 sc1
	v_cmp_eq_u32_e32 vcc, 0, v12
	s_and_b64 s[76:77], vcc, exec
	s_or_b64 s[74:75], s[74:75], s[76:77]
	s_mov_b64 s[78:79], -1
	s_or_b64 s[72:73], s[72:73], exec
	s_and_saveexec_b64 s[76:77], s[74:75]
	s_cbranch_execz .LBB0_83
.LBB0_87:                               ;   in Loop: Header=BB0_84 Depth=2
	s_sleep 1
	s_trap 2
	ds_read_b64 v[12:13], v0
	s_waitcnt lgkmcnt(0)
	s_andn2_b64 s[72:73], s[72:73], exec
	v_cmp_ge_u64_e32 vcc, v[12:13], v[34:35]
	s_orn2_b64 s[78:79], vcc, exec
	s_branch .LBB0_83
.LBB0_88:                               ;   in Loop: Header=BB0_58 Depth=1
	s_or_b64 exec, exec, s[60:61]
	s_and_saveexec_b64 s[60:61], s[62:63]
	s_xor_b64 s[60:61], exec, s[60:61]
	s_cbranch_execz .LBB0_90
; %bb.89:                               ;   in Loop: Header=BB0_58 Depth=1
	ds_write_b32 v0, v117
	s_trap 2
.LBB0_90:                               ;   in Loop: Header=BB0_58 Depth=1
	s_or_b64 exec, exec, s[58:59]
	;;#ASMSTART
	s_wakeup
	;;#ASMEND
.LBB0_91:                               ;   in Loop: Header=BB0_58 Depth=1
	s_or_b64 exec, exec, s[56:57]
.LBB0_92:                               ;   in Loop: Header=BB0_58 Depth=1
	s_andn2_saveexec_b64 s[46:47], s[46:47]
	s_cbranch_execz .LBB0_94
; %bb.93:                               ;   in Loop: Header=BB0_58 Depth=1
	buffer_wbl2 sc1
	s_waitcnt vmcnt(0) lgkmcnt(0)
	buffer_inv sc1
	s_barrier
.LBB0_94:                               ;   in Loop: Header=BB0_58 Depth=1
	s_or_b64 exec, exec, s[46:47]
.LBB0_95:                               ;   in Loop: Header=BB0_58 Depth=1
	s_or_b64 exec, exec, s[16:17]
	v_sub_u32_e32 v48, v1, v64
	v_cmp_lt_i32_e32 vcc, 0, v48
	v_mov_b32_e32 v96, v0
	s_and_saveexec_b64 s[46:47], vcc
	s_cbranch_execnz .LBB0_122
; %bb.96:                               ;   in Loop: Header=BB0_58 Depth=1
	s_or_b64 exec, exec, s[46:47]
	s_and_saveexec_b64 s[16:17], s[10:11]
	s_cbranch_execnz .LBB0_187
.LBB0_97:                               ;   in Loop: Header=BB0_58 Depth=1
	s_or_b64 exec, exec, s[16:17]
	s_and_saveexec_b64 s[16:17], s[14:15]
	s_cbranch_execz .LBB0_99
.LBB0_98:                               ;   in Loop: Header=BB0_58 Depth=1
	v_lshl_add_u64 v[28:29], v[28:29], 0, 1
	flat_store_dwordx2 v[32:33], v[28:29] sc0 sc1
.LBB0_99:                               ;   in Loop: Header=BB0_58 Depth=1
	s_or_b64 exec, exec, s[16:17]
	v_and_b32_e32 v48, 0x7ffffff8, v26
	v_cmp_eq_u64_e32 vcc, s[40:41], v[48:49]
	v_cmp_lt_i32_e64 s[16:17], v96, v114
	s_and_b64 s[46:47], vcc, s[16:17]
	s_and_saveexec_b64 s[16:17], s[46:47]
	s_cbranch_execz .LBB0_102
; %bb.100:                              ;   in Loop: Header=BB0_58 Depth=1
	v_and_b32_e32 v1, 7, v26
	v_mul_lo_u32 v12, v1, v114
	v_ashrrev_i32_e32 v13, 31, v12
	v_ashrrev_i32_e32 v97, 31, v96
	v_lshlrev_b64 v[12:13], 4, v[12:13]
	v_lshl_add_u64 v[12:13], v[96:97], 4, v[12:13]
	v_add_u32_e32 v11, 1, v26
	v_mov_b32_e32 v10, v49
	v_lshl_add_u64 v[98:99], v[24:25], 0, v[12:13]
	s_mov_b64 s[46:47], 0
.LBB0_101:                              ;   Parent Loop BB0_58 Depth=1
                                        ; =>  This Inner Loop Header: Depth=2
	v_add_u32_e32 v96, v96, v2
	v_mov_b32_e32 v12, v10
	v_mov_b32_e32 v13, v11
	v_cmp_ge_i32_e32 vcc, v96, v114
	global_store_dwordx4 v[98:99], v[10:13], off
	s_or_b64 s[46:47], vcc, s[46:47]
	v_lshl_add_u64 v[98:99], v[98:99], 0, v[70:71]
	buffer_wbl2 sc0 sc1
	s_waitcnt vmcnt(0) lgkmcnt(0)
	s_andn2_b64 exec, exec, s[46:47]
	s_cbranch_execnz .LBB0_101
.LBB0_102:                              ;   in Loop: Header=BB0_58 Depth=1
	s_or_b64 exec, exec, s[16:17]
	v_lshl_add_u64 v[22:23], v[22:23], 0, 1
	v_lshl_add_u64 v[26:27], v[26:27], 0, 1
                                        ; implicit-def: $vgpr1
                                        ; implicit-def: $vgpr10_vgpr11
.LBB0_103:                              ;   in Loop: Header=BB0_58 Depth=1
	s_andn2_saveexec_b64 s[44:45], s[44:45]
	s_cbranch_execz .LBB0_121
; %bb.104:                              ;   in Loop: Header=BB0_58 Depth=1
	v_sub_u32_e32 v1, v1, v64
	v_cmp_lt_i32_e32 vcc, 0, v1
	s_and_saveexec_b64 s[46:47], vcc
	s_cbranch_execnz .LBB0_154
; %bb.105:                              ;   in Loop: Header=BB0_58 Depth=1
	s_or_b64 exec, exec, s[46:47]
	s_and_saveexec_b64 s[16:17], s[10:11]
	s_cbranch_execnz .LBB0_199
.LBB0_106:                              ;   in Loop: Header=BB0_58 Depth=1
	s_or_b64 exec, exec, s[16:17]
	s_and_saveexec_b64 s[16:17], s[14:15]
	s_cbranch_execz .LBB0_108
.LBB0_107:                              ;   in Loop: Header=BB0_58 Depth=1
	v_lshl_add_u64 v[28:29], v[28:29], 0, 1
	flat_store_dwordx2 v[32:33], v[28:29] sc0 sc1
.LBB0_108:                              ;   in Loop: Header=BB0_58 Depth=1
	s_or_b64 exec, exec, s[16:17]
	v_lshl_add_u64 v[22:23], v[22:23], 0, 1
	s_or_b64 exec, exec, s[44:45]
                                        ; implicit-def: $vgpr1
.LBB0_109:                              ;   in Loop: Header=BB0_58 Depth=1
	s_andn2_saveexec_b64 s[42:43], s[42:43]
	s_cbranch_execz .LBB0_57
.LBB0_110:                              ;   in Loop: Header=BB0_58 Depth=1
	s_waitcnt vmcnt(0)
	v_add_u32_e32 v10, 7, v1
	v_ashrrev_i32_e32 v11, 31, v10
	v_lshrrev_b32_e32 v11, 29, v11
	v_add_u32_e32 v10, v10, v11
	v_ashrrev_i32_e32 v12, 3, v10
	s_and_saveexec_b64 s[16:17], s[28:29]
	s_xor_b64 s[44:45], exec, s[16:17]
	s_cbranch_execz .LBB0_279
; %bb.111:                              ;   in Loop: Header=BB0_58 Depth=1
	s_and_saveexec_b64 s[46:47], s[6:7]
	s_cbranch_execz .LBB0_216
; %bb.112:                              ;   in Loop: Header=BB0_58 Depth=1
	v_lshl_add_u64 v[10:11], v[8:9], 0, 1
	s_waitcnt lgkmcnt(0)
	v_lshl_add_u64 v[96:97], v[52:53], 0, 8
	v_cmp_lt_u64_e32 vcc, v[96:97], v[10:11]
	s_and_saveexec_b64 s[56:57], vcc
	s_cbranch_execz .LBB0_213
; %bb.113:                              ;   in Loop: Header=BB0_58 Depth=1
	s_mov_b32 s92, 0
	v_cmp_eq_u32_e32 vcc, 0, v118
	s_mov_b64 s[58:59], 0
                                        ; implicit-def: $sgpr60_sgpr61
                                        ; implicit-def: $sgpr62_sgpr63
                                        ; implicit-def: $sgpr72_sgpr73
	s_branch .LBB0_116
.LBB0_114:                              ;   in Loop: Header=BB0_116 Depth=2
	s_or_b64 exec, exec, s[90:91]
	s_andn2_b64 s[16:17], s[72:73], exec
	s_and_b64 s[72:73], s[78:79], exec
	s_or_b64 s[72:73], s[16:17], s[72:73]
	s_andn2_b64 s[16:17], s[62:63], exec
	s_and_b64 s[62:63], s[76:77], exec
	s_or_b64 s[62:63], s[16:17], s[62:63]
.LBB0_115:                              ;   in Loop: Header=BB0_116 Depth=2
	s_or_b64 exec, exec, s[74:75]
	s_and_b64 s[16:17], exec, s[62:63]
	s_or_b64 s[58:59], s[16:17], s[58:59]
	s_andn2_b64 s[16:17], s[60:61], exec
	s_and_b64 s[60:61], s[72:73], exec
	s_or_b64 s[60:61], s[16:17], s[60:61]
	s_andn2_b64 exec, exec, s[58:59]
	s_cbranch_execz .LBB0_210
.LBB0_116:                              ;   Parent Loop BB0_58 Depth=1
                                        ; =>  This Inner Loop Header: Depth=2
	s_sleep 1
	s_waitcnt vmcnt(0) lgkmcnt(0)
	flat_load_dwordx2 v[52:53], v[36:37] sc1
	v_mov_b32_e32 v118, 1
	s_or_b64 s[72:73], s[72:73], exec
	s_or_b64 s[62:63], s[62:63], exec
                                        ; implicit-def: $vgpr9
	s_and_saveexec_b64 s[74:75], vcc
	s_cbranch_execz .LBB0_115
; %bb.117:                              ;   in Loop: Header=BB0_116 Depth=2
	s_add_i32 s92, s92, 1
	s_cmpk_lg_i32 s92, 0x2710
	s_cselect_b64 s[88:89], -1, 0
	s_cmpk_eq_i32 s92, 0x2710
	s_mov_b64 s[76:77], -1
	s_mov_b64 s[78:79], -1
                                        ; implicit-def: $vgpr9
	s_cbranch_scc1 .LBB0_119
; %bb.118:                              ;   in Loop: Header=BB0_116 Depth=2
	v_mov_b32_e32 v118, 1
	s_and_saveexec_b64 s[90:91], s[88:89]
	s_cbranch_execz .LBB0_114
	s_branch .LBB0_120
.LBB0_119:                              ;   in Loop: Header=BB0_116 Depth=2
	s_trap 2
	ds_read_b64 v[96:97], v0
	s_andn2_b64 s[88:89], s[88:89], exec
	s_mov_b32 s92, 0
	s_mov_b64 s[78:79], 0
	s_waitcnt vmcnt(0) lgkmcnt(0)
	flat_load_dword v9, v[96:97] sc0 sc1
	s_waitcnt vmcnt(0) lgkmcnt(0)
	buffer_inv sc0 sc1
	v_cmp_eq_u32_e64 s[16:17], 0, v9
	s_and_b64 s[16:17], s[16:17], exec
	s_or_b64 s[88:89], s[88:89], s[16:17]
	v_mov_b32_e32 v118, 1
	s_and_saveexec_b64 s[90:91], s[88:89]
	s_cbranch_execz .LBB0_114
.LBB0_120:                              ;   in Loop: Header=BB0_116 Depth=2
	s_waitcnt vmcnt(0) lgkmcnt(0)
	v_lshl_add_u64 v[96:97], v[52:53], 0, 8
	v_cmp_ge_u64_e64 s[16:17], v[96:97], v[10:11]
	v_mov_b32_e32 v118, 0
	s_or_b64 s[78:79], s[78:79], exec
	s_orn2_b64 s[76:77], s[16:17], exec
	s_branch .LBB0_114
.LBB0_121:                              ;   in Loop: Header=BB0_58 Depth=1
	s_or_b64 exec, exec, s[44:45]
                                        ; implicit-def: $vgpr1
	s_andn2_saveexec_b64 s[42:43], s[42:43]
	s_cbranch_execz .LBB0_57
	s_branch .LBB0_110
.LBB0_122:                              ;   in Loop: Header=BB0_58 Depth=1
	v_and_b32_e32 v1, 7, v22
	v_lshl_add_u64 v[98:99], v[68:69], 0, v[10:11]
	v_mul_lo_u32 v10, v1, v114
	v_ashrrev_i32_e32 v11, 31, v10
	v_and_b32_e32 v1, 7, v26
	v_lshl_add_u64 v[100:101], v[10:11], 4, v[20:21]
	v_mul_lo_u32 v10, v1, v114
	v_ashrrev_i32_e32 v11, 31, v10
	v_add_u32_e32 v119, 1, v22
	v_lshl_add_u64 v[102:103], v[10:11], 4, v[24:25]
	v_add_u32_e32 v1, 1, v26
	s_mov_b64 s[56:57], 0
	v_mov_b32_e32 v96, v0
	s_branch .LBB0_124
.LBB0_123:                              ;   in Loop: Header=BB0_124 Depth=2
	v_sub_u32_e32 v48, v48, v66
	v_cmp_gt_i32_e32 vcc, 1, v48
	v_lshl_add_u64 v[98:99], v[98:99], 0, v[66:67]
	s_or_b64 s[56:57], vcc, s[56:57]
	v_add_u32_e32 v96, v96, v2
	s_andn2_b64 exec, exec, s[56:57]
	s_cbranch_execz .LBB0_186
.LBB0_124:                              ;   Parent Loop BB0_58 Depth=1
                                        ; =>  This Loop Header: Depth=2
                                        ;       Child Loop BB0_128 Depth 3
	v_ashrrev_i32_e32 v97, 31, v96
	v_lshl_add_u64 v[112:113], v[96:97], 4, v[100:101]
	global_load_dwordx4 v[10:13], v[112:113], off nt
	v_cmp_eq_u32_e32 vcc, 0, v118
	v_mov_b32_e32 v118, 1
	s_and_saveexec_b64 s[58:59], vcc
	s_cbranch_execz .LBB0_136
; %bb.125:                              ;   in Loop: Header=BB0_124 Depth=2
	s_waitcnt vmcnt(0)
	v_cmp_ne_u32_e32 vcc, v119, v11
	v_cmp_ne_u32_e64 s[16:17], v119, v13
	s_or_b64 s[16:17], vcc, s[16:17]
	v_mov_b32_e32 v118, 0
	s_and_saveexec_b64 s[60:61], s[16:17]
	s_cbranch_execz .LBB0_135
; %bb.126:                              ;   in Loop: Header=BB0_124 Depth=2
	s_mov_b32 s88, 1
	s_mov_b64 s[72:73], 0
                                        ; implicit-def: $sgpr62_sgpr63
                                        ; implicit-def: $sgpr74_sgpr75
	s_branch .LBB0_128
.LBB0_127:                              ;   in Loop: Header=BB0_128 Depth=3
	s_or_b64 exec, exec, s[78:79]
	s_and_b64 s[16:17], exec, s[16:17]
	s_or_b64 s[72:73], s[16:17], s[72:73]
	s_andn2_b64 s[16:17], s[62:63], exec
	s_and_b64 s[62:63], s[74:75], exec
	s_or_b64 s[62:63], s[16:17], s[62:63]
	s_andn2_b64 exec, exec, s[72:73]
	s_cbranch_execz .LBB0_132
.LBB0_128:                              ;   Parent Loop BB0_58 Depth=1
                                        ;     Parent Loop BB0_124 Depth=2
                                        ; =>    This Inner Loop Header: Depth=3
	global_load_dwordx4 v[10:13], v[112:113], off nt
	s_add_i32 s88, s88, 1
	s_mov_b64 s[16:17], -1
	s_cmpk_lg_i32 s88, 0x2710
	s_mov_b64 s[76:77], -1
                                        ; implicit-def: $vgpr40
	s_cbranch_scc0 .LBB0_130
; %bb.129:                              ;   in Loop: Header=BB0_128 Depth=3
	s_or_b64 s[74:75], s[74:75], exec
	s_and_saveexec_b64 s[78:79], s[76:77]
	s_cbranch_execz .LBB0_127
	s_branch .LBB0_131
.LBB0_130:                              ;   in Loop: Header=BB0_128 Depth=3
	s_trap 2
	ds_read_b64 v[40:41], v0
	s_mov_b32 s88, 0
	s_waitcnt vmcnt(0) lgkmcnt(0)
	flat_load_dword v40, v[40:41] sc0 sc1
	s_waitcnt vmcnt(0) lgkmcnt(0)
	buffer_inv sc0 sc1
	v_cmp_eq_u32_e32 vcc, 0, v40
	s_orn2_b64 s[76:77], vcc, exec
	s_or_b64 s[74:75], s[74:75], exec
	s_and_saveexec_b64 s[78:79], s[76:77]
	s_cbranch_execz .LBB0_127
.LBB0_131:                              ;   in Loop: Header=BB0_128 Depth=3
	s_waitcnt vmcnt(0)
	v_cmp_eq_u32_e32 vcc, v119, v11
	v_cmp_eq_u32_e64 s[16:17], v119, v13
	s_and_b64 s[16:17], vcc, s[16:17]
	s_andn2_b64 s[74:75], s[74:75], exec
	s_orn2_b64 s[16:17], s[16:17], exec
	s_branch .LBB0_127
.LBB0_132:                              ;   in Loop: Header=BB0_124 Depth=2
	s_or_b64 exec, exec, s[72:73]
	v_mov_b32_e32 v118, 0
	s_and_saveexec_b64 s[16:17], s[62:63]
	s_xor_b64 s[16:17], exec, s[16:17]
	s_cbranch_execz .LBB0_134
; %bb.133:                              ;   in Loop: Header=BB0_124 Depth=2
	v_mov_b32_e32 v118, 1
	s_waitcnt lgkmcnt(0)
	ds_write_b32 v0, v40
	s_trap 2
.LBB0_134:                              ;   in Loop: Header=BB0_124 Depth=2
	s_or_b64 exec, exec, s[16:17]
.LBB0_135:                              ;   in Loop: Header=BB0_124 Depth=2
	s_or_b64 exec, exec, s[60:61]
.LBB0_136:                              ;   in Loop: Header=BB0_124 Depth=2
	s_or_b64 exec, exec, s[58:59]
	v_cmp_lt_u32_e32 vcc, 7, v48
	v_lshl_add_u64 v[112:113], v[96:97], 4, v[102:103]
	s_waitcnt vmcnt(0)
	v_mov_b32_e32 v11, v1
	v_mov_b32_e32 v13, v1
	s_cmp_lg_u64 vcc, exec
	s_mov_b64 s[16:17], -1
	global_store_dwordx4 v[112:113], v[10:13], off
	buffer_wbl2 sc0 sc1
	s_waitcnt vmcnt(0) lgkmcnt(0)
	s_cbranch_scc0 .LBB0_146
; %bb.137:                              ;   in Loop: Header=BB0_124 Depth=2
	v_cmp_ne_u32_e64 s[16:17], 1, v48
	flat_store_byte v[98:99], v10
	s_and_saveexec_b64 s[58:59], s[16:17]
	s_cbranch_execnz .LBB0_148
; %bb.138:                              ;   in Loop: Header=BB0_124 Depth=2
	s_or_b64 exec, exec, s[58:59]
	v_cmp_lt_u32_e64 s[16:17], 2, v48
	s_and_saveexec_b64 s[58:59], s[16:17]
	s_cbranch_execnz .LBB0_149
.LBB0_139:                              ;   in Loop: Header=BB0_124 Depth=2
	s_or_b64 exec, exec, s[58:59]
	v_cmp_lt_u32_e64 s[16:17], 3, v48
	s_and_saveexec_b64 s[58:59], s[16:17]
	s_cbranch_execnz .LBB0_150
.LBB0_140:                              ;   in Loop: Header=BB0_124 Depth=2
	s_or_b64 exec, exec, s[58:59]
	v_cmp_lt_u32_e64 s[16:17], 4, v48
	s_and_saveexec_b64 s[58:59], s[16:17]
	s_cbranch_execnz .LBB0_151
.LBB0_141:                              ;   in Loop: Header=BB0_124 Depth=2
	s_or_b64 exec, exec, s[58:59]
	v_cmp_lt_u32_e64 s[16:17], 5, v48
	s_and_saveexec_b64 s[58:59], s[16:17]
	s_cbranch_execnz .LBB0_152
.LBB0_142:                              ;   in Loop: Header=BB0_124 Depth=2
	s_or_b64 exec, exec, s[58:59]
	v_cmp_lt_u32_e64 s[16:17], 6, v48
	s_and_saveexec_b64 s[58:59], s[16:17]
	s_cbranch_execnz .LBB0_153
.LBB0_143:                              ;   in Loop: Header=BB0_124 Depth=2
	s_or_b64 exec, exec, s[58:59]
	s_and_saveexec_b64 s[16:17], vcc
	s_cbranch_execz .LBB0_145
.LBB0_144:                              ;   in Loop: Header=BB0_124 Depth=2
	v_lshrrev_b32_e32 v11, 24, v12
	flat_store_byte v[98:99], v11 offset:7
.LBB0_145:                              ;   in Loop: Header=BB0_124 Depth=2
	s_or_b64 exec, exec, s[16:17]
	s_mov_b64 s[16:17], 0
.LBB0_146:                              ;   in Loop: Header=BB0_124 Depth=2
	s_and_b64 vcc, exec, s[16:17]
	s_cbranch_vccz .LBB0_123
; %bb.147:                              ;   in Loop: Header=BB0_124 Depth=2
	v_mov_b32_e32 v11, v12
	global_store_dwordx2 v[98:99], v[10:11], off
	s_branch .LBB0_123
.LBB0_148:                              ;   in Loop: Header=BB0_124 Depth=2
	v_lshrrev_b32_e32 v11, 8, v10
	flat_store_byte v[98:99], v11 offset:1
	s_or_b64 exec, exec, s[58:59]
	v_cmp_lt_u32_e64 s[16:17], 2, v48
	s_and_saveexec_b64 s[58:59], s[16:17]
	s_cbranch_execz .LBB0_139
.LBB0_149:                              ;   in Loop: Header=BB0_124 Depth=2
	flat_store_byte_d16_hi v[98:99], v10 offset:2
	s_or_b64 exec, exec, s[58:59]
	v_cmp_lt_u32_e64 s[16:17], 3, v48
	s_and_saveexec_b64 s[58:59], s[16:17]
	s_cbranch_execz .LBB0_140
.LBB0_150:                              ;   in Loop: Header=BB0_124 Depth=2
	v_lshrrev_b32_e32 v11, 24, v10
	flat_store_byte v[98:99], v11 offset:3
	s_or_b64 exec, exec, s[58:59]
	v_cmp_lt_u32_e64 s[16:17], 4, v48
	s_and_saveexec_b64 s[58:59], s[16:17]
	s_cbranch_execz .LBB0_141
.LBB0_151:                              ;   in Loop: Header=BB0_124 Depth=2
	flat_store_byte v[98:99], v12 offset:4
	s_or_b64 exec, exec, s[58:59]
	v_cmp_lt_u32_e64 s[16:17], 5, v48
	s_and_saveexec_b64 s[58:59], s[16:17]
	s_cbranch_execz .LBB0_142
.LBB0_152:                              ;   in Loop: Header=BB0_124 Depth=2
	v_lshrrev_b32_e32 v11, 8, v12
	flat_store_byte v[98:99], v11 offset:5
	s_or_b64 exec, exec, s[58:59]
	v_cmp_lt_u32_e64 s[16:17], 6, v48
	s_and_saveexec_b64 s[58:59], s[16:17]
	s_cbranch_execz .LBB0_143
.LBB0_153:                              ;   in Loop: Header=BB0_124 Depth=2
	flat_store_byte_d16_hi v[98:99], v12 offset:6
	s_or_b64 exec, exec, s[58:59]
	s_and_saveexec_b64 s[16:17], vcc
	s_cbranch_execnz .LBB0_144
	s_branch .LBB0_145
.LBB0_154:                              ;   in Loop: Header=BB0_58 Depth=1
	v_lshl_add_u64 v[96:97], v[68:69], 0, v[10:11]
	v_and_b32_e32 v10, 7, v22
	v_mul_lo_u32 v10, v10, v114
	v_ashrrev_i32_e32 v11, 31, v10
	v_lshl_add_u64 v[98:99], v[10:11], 4, v[20:21]
	v_add_u32_e32 v48, 1, v22
	s_mov_b64 s[56:57], 0
	v_mov_b32_e32 v100, v0
	s_branch .LBB0_156
.LBB0_155:                              ;   in Loop: Header=BB0_156 Depth=2
	v_sub_u32_e32 v1, v1, v66
	v_cmp_gt_i32_e32 vcc, 1, v1
	v_lshl_add_u64 v[96:97], v[96:97], 0, v[66:67]
	s_or_b64 s[56:57], vcc, s[56:57]
	v_add_u32_e32 v100, v100, v2
	s_andn2_b64 exec, exec, s[56:57]
	s_cbranch_execz .LBB0_198
.LBB0_156:                              ;   Parent Loop BB0_58 Depth=1
                                        ; =>  This Loop Header: Depth=2
                                        ;       Child Loop BB0_160 Depth 3
	v_ashrrev_i32_e32 v101, 31, v100
	v_lshl_add_u64 v[102:103], v[100:101], 4, v[98:99]
	global_load_dwordx4 v[10:13], v[102:103], off nt
	v_cmp_eq_u32_e32 vcc, 0, v118
	v_mov_b32_e32 v118, 1
	s_and_saveexec_b64 s[58:59], vcc
	s_cbranch_execz .LBB0_168
; %bb.157:                              ;   in Loop: Header=BB0_156 Depth=2
	s_waitcnt vmcnt(0)
	v_cmp_ne_u32_e32 vcc, v48, v11
	v_cmp_ne_u32_e64 s[16:17], v48, v13
	s_or_b64 s[16:17], vcc, s[16:17]
	v_mov_b32_e32 v118, 0
	s_and_saveexec_b64 s[60:61], s[16:17]
	s_cbranch_execz .LBB0_167
; %bb.158:                              ;   in Loop: Header=BB0_156 Depth=2
	s_mov_b32 s88, 1
	s_mov_b64 s[72:73], 0
                                        ; implicit-def: $sgpr62_sgpr63
                                        ; implicit-def: $sgpr74_sgpr75
	s_branch .LBB0_160
.LBB0_159:                              ;   in Loop: Header=BB0_160 Depth=3
	s_or_b64 exec, exec, s[78:79]
	s_and_b64 s[16:17], exec, s[16:17]
	s_or_b64 s[72:73], s[16:17], s[72:73]
	s_andn2_b64 s[16:17], s[62:63], exec
	s_and_b64 s[62:63], s[74:75], exec
	s_or_b64 s[62:63], s[16:17], s[62:63]
	s_andn2_b64 exec, exec, s[72:73]
	s_cbranch_execz .LBB0_164
.LBB0_160:                              ;   Parent Loop BB0_58 Depth=1
                                        ;     Parent Loop BB0_156 Depth=2
                                        ; =>    This Inner Loop Header: Depth=3
	global_load_dwordx4 v[10:13], v[102:103], off nt
	s_add_i32 s88, s88, 1
	s_mov_b64 s[16:17], -1
	s_cmpk_lg_i32 s88, 0x2710
	s_mov_b64 s[76:77], -1
                                        ; implicit-def: $vgpr101
	s_cbranch_scc0 .LBB0_162
; %bb.161:                              ;   in Loop: Header=BB0_160 Depth=3
	s_or_b64 s[74:75], s[74:75], exec
	s_and_saveexec_b64 s[78:79], s[76:77]
	s_cbranch_execz .LBB0_159
	s_branch .LBB0_163
.LBB0_162:                              ;   in Loop: Header=BB0_160 Depth=3
	s_trap 2
	ds_read_b64 v[112:113], v0
	s_mov_b32 s88, 0
	s_waitcnt vmcnt(0) lgkmcnt(0)
	flat_load_dword v101, v[112:113] sc0 sc1
	s_waitcnt vmcnt(0) lgkmcnt(0)
	buffer_inv sc0 sc1
	v_cmp_eq_u32_e32 vcc, 0, v101
	s_orn2_b64 s[76:77], vcc, exec
	s_or_b64 s[74:75], s[74:75], exec
	s_and_saveexec_b64 s[78:79], s[76:77]
	s_cbranch_execz .LBB0_159
.LBB0_163:                              ;   in Loop: Header=BB0_160 Depth=3
	s_waitcnt vmcnt(0)
	v_cmp_eq_u32_e32 vcc, v48, v11
	v_cmp_eq_u32_e64 s[16:17], v48, v13
	s_and_b64 s[16:17], vcc, s[16:17]
	s_andn2_b64 s[74:75], s[74:75], exec
	s_orn2_b64 s[16:17], s[16:17], exec
	s_branch .LBB0_159
.LBB0_164:                              ;   in Loop: Header=BB0_156 Depth=2
	s_or_b64 exec, exec, s[72:73]
	v_mov_b32_e32 v118, 0
	s_and_saveexec_b64 s[16:17], s[62:63]
	s_xor_b64 s[16:17], exec, s[16:17]
	s_cbranch_execz .LBB0_166
; %bb.165:                              ;   in Loop: Header=BB0_156 Depth=2
	v_mov_b32_e32 v118, 1
	s_waitcnt lgkmcnt(0)
	ds_write_b32 v0, v101
	s_trap 2
.LBB0_166:                              ;   in Loop: Header=BB0_156 Depth=2
	s_or_b64 exec, exec, s[16:17]
.LBB0_167:                              ;   in Loop: Header=BB0_156 Depth=2
	s_or_b64 exec, exec, s[60:61]
.LBB0_168:                              ;   in Loop: Header=BB0_156 Depth=2
	s_or_b64 exec, exec, s[58:59]
	v_cmp_lt_u32_e32 vcc, 7, v1
	s_cmp_lg_u64 vcc, exec
	s_mov_b64 s[16:17], -1
	s_cbranch_scc0 .LBB0_178
; %bb.169:                              ;   in Loop: Header=BB0_156 Depth=2
	v_cmp_ne_u32_e64 s[16:17], 1, v1
	s_waitcnt vmcnt(0)
	flat_store_byte v[96:97], v10
	s_and_saveexec_b64 s[58:59], s[16:17]
	s_cbranch_execnz .LBB0_180
; %bb.170:                              ;   in Loop: Header=BB0_156 Depth=2
	s_or_b64 exec, exec, s[58:59]
	v_cmp_lt_u32_e64 s[16:17], 2, v1
	s_and_saveexec_b64 s[58:59], s[16:17]
	s_cbranch_execnz .LBB0_181
.LBB0_171:                              ;   in Loop: Header=BB0_156 Depth=2
	s_or_b64 exec, exec, s[58:59]
	v_cmp_lt_u32_e64 s[16:17], 3, v1
	s_and_saveexec_b64 s[58:59], s[16:17]
	s_cbranch_execnz .LBB0_182
.LBB0_172:                              ;   in Loop: Header=BB0_156 Depth=2
	s_or_b64 exec, exec, s[58:59]
	v_cmp_lt_u32_e64 s[16:17], 4, v1
	s_and_saveexec_b64 s[58:59], s[16:17]
	s_cbranch_execnz .LBB0_183
.LBB0_173:                              ;   in Loop: Header=BB0_156 Depth=2
	s_or_b64 exec, exec, s[58:59]
	v_cmp_lt_u32_e64 s[16:17], 5, v1
	s_and_saveexec_b64 s[58:59], s[16:17]
	s_cbranch_execnz .LBB0_184
.LBB0_174:                              ;   in Loop: Header=BB0_156 Depth=2
	s_or_b64 exec, exec, s[58:59]
	v_cmp_lt_u32_e64 s[16:17], 6, v1
	s_and_saveexec_b64 s[58:59], s[16:17]
	s_cbranch_execnz .LBB0_185
.LBB0_175:                              ;   in Loop: Header=BB0_156 Depth=2
	s_or_b64 exec, exec, s[58:59]
	s_and_saveexec_b64 s[16:17], vcc
	s_cbranch_execz .LBB0_177
.LBB0_176:                              ;   in Loop: Header=BB0_156 Depth=2
	v_lshrrev_b32_e32 v11, 24, v12
	flat_store_byte v[96:97], v11 offset:7
.LBB0_177:                              ;   in Loop: Header=BB0_156 Depth=2
	s_or_b64 exec, exec, s[16:17]
	s_mov_b64 s[16:17], 0
.LBB0_178:                              ;   in Loop: Header=BB0_156 Depth=2
	s_and_b64 vcc, exec, s[16:17]
	s_cbranch_vccz .LBB0_155
; %bb.179:                              ;   in Loop: Header=BB0_156 Depth=2
	s_waitcnt vmcnt(0)
	v_mov_b32_e32 v11, v12
	global_store_dwordx2 v[96:97], v[10:11], off
	s_branch .LBB0_155
.LBB0_180:                              ;   in Loop: Header=BB0_156 Depth=2
	v_lshrrev_b32_e32 v11, 8, v10
	flat_store_byte v[96:97], v11 offset:1
	s_or_b64 exec, exec, s[58:59]
	v_cmp_lt_u32_e64 s[16:17], 2, v1
	s_and_saveexec_b64 s[58:59], s[16:17]
	s_cbranch_execz .LBB0_171
.LBB0_181:                              ;   in Loop: Header=BB0_156 Depth=2
	flat_store_byte_d16_hi v[96:97], v10 offset:2
	s_or_b64 exec, exec, s[58:59]
	v_cmp_lt_u32_e64 s[16:17], 3, v1
	s_and_saveexec_b64 s[58:59], s[16:17]
	s_cbranch_execz .LBB0_172
.LBB0_182:                              ;   in Loop: Header=BB0_156 Depth=2
	v_lshrrev_b32_e32 v11, 24, v10
	flat_store_byte v[96:97], v11 offset:3
	s_or_b64 exec, exec, s[58:59]
	v_cmp_lt_u32_e64 s[16:17], 4, v1
	s_and_saveexec_b64 s[58:59], s[16:17]
	s_cbranch_execz .LBB0_173
.LBB0_183:                              ;   in Loop: Header=BB0_156 Depth=2
	flat_store_byte v[96:97], v12 offset:4
	s_or_b64 exec, exec, s[58:59]
	v_cmp_lt_u32_e64 s[16:17], 5, v1
	s_and_saveexec_b64 s[58:59], s[16:17]
	s_cbranch_execz .LBB0_174
.LBB0_184:                              ;   in Loop: Header=BB0_156 Depth=2
	v_lshrrev_b32_e32 v11, 8, v12
	flat_store_byte v[96:97], v11 offset:5
	s_or_b64 exec, exec, s[58:59]
	v_cmp_lt_u32_e64 s[16:17], 6, v1
	s_and_saveexec_b64 s[58:59], s[16:17]
	s_cbranch_execz .LBB0_175
.LBB0_185:                              ;   in Loop: Header=BB0_156 Depth=2
	flat_store_byte_d16_hi v[96:97], v12 offset:6
	s_or_b64 exec, exec, s[58:59]
	s_and_saveexec_b64 s[16:17], vcc
	s_cbranch_execnz .LBB0_176
	s_branch .LBB0_177
.LBB0_186:                              ;   in Loop: Header=BB0_58 Depth=1
	s_or_b64 exec, exec, s[56:57]
	s_or_b64 exec, exec, s[46:47]
	s_and_saveexec_b64 s[16:17], s[10:11]
	s_cbranch_execz .LBB0_97
.LBB0_187:                              ;   in Loop: Header=BB0_58 Depth=1
	s_and_saveexec_b64 s[46:47], s[26:27]
	s_xor_b64 s[46:47], exec, s[46:47]
	s_cbranch_execz .LBB0_232
; %bb.188:                              ;   in Loop: Header=BB0_58 Depth=1
	s_and_saveexec_b64 s[56:57], s[12:13]
	s_cbranch_execz .LBB0_231
; %bb.189:                              ;   in Loop: Header=BB0_58 Depth=1
	s_mov_b64 s[60:61], exec
	v_mbcnt_lo_u32_b32 v1, s60, 0
	v_mbcnt_hi_u32_b32 v1, s61, v1
	v_cmp_eq_u32_e32 vcc, 0, v1
	buffer_wbl2 sc1
	s_waitcnt vmcnt(0) lgkmcnt(0)
	buffer_inv sc1
	s_and_saveexec_b64 s[58:59], vcc
	s_cbranch_execz .LBB0_191
; %bb.190:                              ;   in Loop: Header=BB0_58 Depth=1
	s_bcnt1_i32_b64 s60, s[60:61]
	v_mov_b32_e32 v48, s60
	ds_add_u64 v0, v[48:49]
	s_trap 2
.LBB0_191:                              ;   in Loop: Header=BB0_58 Depth=1
	s_or_b64 exec, exec, s[58:59]
	s_trap 2
	ds_read_b64 v[10:11], v0
	s_waitcnt lgkmcnt(0)
	v_lshl_add_u64 v[34:35], v[34:35], 0, v[54:55]
	v_cmp_lt_u64_e32 vcc, v[10:11], v[34:35]
	s_and_saveexec_b64 s[58:59], vcc
	s_cbranch_execz .LBB0_230
; %bb.192:                              ;   in Loop: Header=BB0_58 Depth=1
	s_mov_b32 s88, 0
	s_mov_b64 s[60:61], 0
                                        ; implicit-def: $sgpr62_sgpr63
                                        ; implicit-def: $sgpr72_sgpr73
	s_branch .LBB0_194
.LBB0_193:                              ;   in Loop: Header=BB0_194 Depth=2
	s_or_b64 exec, exec, s[76:77]
	s_and_b64 s[74:75], exec, s[78:79]
	s_or_b64 s[60:61], s[74:75], s[60:61]
	s_andn2_b64 s[62:63], s[62:63], exec
	s_and_b64 s[74:75], s[72:73], exec
	s_or_b64 s[62:63], s[62:63], s[74:75]
	s_andn2_b64 exec, exec, s[60:61]
	s_cbranch_execz .LBB0_228
.LBB0_194:                              ;   Parent Loop BB0_58 Depth=1
                                        ; =>  This Inner Loop Header: Depth=2
	s_add_i32 s88, s88, 1
	s_cmpk_lg_i32 s88, 0x2710
	s_cselect_b64 s[74:75], -1, 0
	s_and_b64 vcc, exec, s[74:75]
	s_cbranch_vccz .LBB0_196
; %bb.195:                              ;   in Loop: Header=BB0_194 Depth=2
	s_mov_b64 s[78:79], -1
	s_or_b64 s[72:73], s[72:73], exec
	s_and_saveexec_b64 s[76:77], s[74:75]
	s_cbranch_execz .LBB0_193
	s_branch .LBB0_197
.LBB0_196:                              ;   in Loop: Header=BB0_194 Depth=2
	s_trap 2
	ds_read_b64 v[10:11], v0
	s_andn2_b64 s[74:75], s[74:75], exec
	s_mov_b32 s88, 0
	s_waitcnt lgkmcnt(0)
	flat_load_dword v1, v[10:11] sc0 sc1
	s_waitcnt vmcnt(0) lgkmcnt(0)
	buffer_inv sc0 sc1
	v_cmp_eq_u32_e32 vcc, 0, v1
	s_and_b64 s[76:77], vcc, exec
	s_or_b64 s[74:75], s[74:75], s[76:77]
	s_mov_b64 s[78:79], -1
	s_or_b64 s[72:73], s[72:73], exec
	s_and_saveexec_b64 s[76:77], s[74:75]
	s_cbranch_execz .LBB0_193
.LBB0_197:                              ;   in Loop: Header=BB0_194 Depth=2
	s_sleep 1
	s_trap 2
	ds_read_b64 v[10:11], v0
	s_waitcnt lgkmcnt(0)
	s_andn2_b64 s[72:73], s[72:73], exec
	v_cmp_ge_u64_e32 vcc, v[10:11], v[34:35]
	s_orn2_b64 s[78:79], vcc, exec
	s_branch .LBB0_193
.LBB0_198:                              ;   in Loop: Header=BB0_58 Depth=1
	s_or_b64 exec, exec, s[56:57]
	s_or_b64 exec, exec, s[46:47]
	s_and_saveexec_b64 s[16:17], s[10:11]
	s_cbranch_execz .LBB0_106
.LBB0_199:                              ;   in Loop: Header=BB0_58 Depth=1
	s_and_saveexec_b64 s[46:47], s[26:27]
	s_xor_b64 s[46:47], exec, s[46:47]
	s_cbranch_execz .LBB0_239
; %bb.200:                              ;   in Loop: Header=BB0_58 Depth=1
	s_and_saveexec_b64 s[56:57], s[12:13]
	s_cbranch_execz .LBB0_238
; %bb.201:                              ;   in Loop: Header=BB0_58 Depth=1
	s_mov_b64 s[60:61], exec
	v_mbcnt_lo_u32_b32 v1, s60, 0
	v_mbcnt_hi_u32_b32 v1, s61, v1
	v_cmp_eq_u32_e32 vcc, 0, v1
	buffer_wbl2 sc1
	s_waitcnt vmcnt(0) lgkmcnt(0)
	buffer_inv sc1
	s_and_saveexec_b64 s[58:59], vcc
	s_cbranch_execz .LBB0_203
; %bb.202:                              ;   in Loop: Header=BB0_58 Depth=1
	s_bcnt1_i32_b64 s60, s[60:61]
	v_mov_b32_e32 v48, s60
	ds_add_u64 v0, v[48:49]
	s_trap 2
.LBB0_203:                              ;   in Loop: Header=BB0_58 Depth=1
	s_or_b64 exec, exec, s[58:59]
	s_trap 2
	ds_read_b64 v[10:11], v0
	s_waitcnt lgkmcnt(0)
	v_lshl_add_u64 v[34:35], v[34:35], 0, v[54:55]
	v_cmp_lt_u64_e32 vcc, v[10:11], v[34:35]
	s_and_saveexec_b64 s[58:59], vcc
	s_cbranch_execz .LBB0_237
; %bb.204:                              ;   in Loop: Header=BB0_58 Depth=1
	s_mov_b32 s88, 0
	s_mov_b64 s[60:61], 0
                                        ; implicit-def: $sgpr62_sgpr63
                                        ; implicit-def: $sgpr72_sgpr73
	s_branch .LBB0_206
.LBB0_205:                              ;   in Loop: Header=BB0_206 Depth=2
	s_or_b64 exec, exec, s[76:77]
	s_and_b64 s[74:75], exec, s[78:79]
	s_or_b64 s[60:61], s[74:75], s[60:61]
	s_andn2_b64 s[62:63], s[62:63], exec
	s_and_b64 s[74:75], s[72:73], exec
	s_or_b64 s[62:63], s[62:63], s[74:75]
	s_andn2_b64 exec, exec, s[60:61]
	s_cbranch_execz .LBB0_235
.LBB0_206:                              ;   Parent Loop BB0_58 Depth=1
                                        ; =>  This Inner Loop Header: Depth=2
	s_add_i32 s88, s88, 1
	s_cmpk_lg_i32 s88, 0x2710
	s_cselect_b64 s[74:75], -1, 0
	s_and_b64 vcc, exec, s[74:75]
	s_cbranch_vccz .LBB0_208
; %bb.207:                              ;   in Loop: Header=BB0_206 Depth=2
	s_mov_b64 s[78:79], -1
	s_or_b64 s[72:73], s[72:73], exec
	s_and_saveexec_b64 s[76:77], s[74:75]
	s_cbranch_execz .LBB0_205
	s_branch .LBB0_209
.LBB0_208:                              ;   in Loop: Header=BB0_206 Depth=2
	s_trap 2
	ds_read_b64 v[10:11], v0
	s_andn2_b64 s[74:75], s[74:75], exec
	s_mov_b32 s88, 0
	s_waitcnt lgkmcnt(0)
	flat_load_dword v1, v[10:11] sc0 sc1
	s_waitcnt vmcnt(0) lgkmcnt(0)
	buffer_inv sc0 sc1
	v_cmp_eq_u32_e32 vcc, 0, v1
	s_and_b64 s[76:77], vcc, exec
	s_or_b64 s[74:75], s[74:75], s[76:77]
	s_mov_b64 s[78:79], -1
	s_or_b64 s[72:73], s[72:73], exec
	s_and_saveexec_b64 s[76:77], s[74:75]
	s_cbranch_execz .LBB0_205
.LBB0_209:                              ;   in Loop: Header=BB0_206 Depth=2
	s_sleep 1
	s_trap 2
	ds_read_b64 v[10:11], v0
	s_waitcnt lgkmcnt(0)
	s_andn2_b64 s[72:73], s[72:73], exec
	v_cmp_ge_u64_e32 vcc, v[10:11], v[34:35]
	s_orn2_b64 s[78:79], vcc, exec
	s_branch .LBB0_205
.LBB0_210:                              ;   in Loop: Header=BB0_58 Depth=1
	s_or_b64 exec, exec, s[58:59]
	s_xor_b64 s[16:17], s[60:61], -1
	s_and_saveexec_b64 s[58:59], s[16:17]
	s_xor_b64 s[16:17], exec, s[58:59]
	s_cbranch_execz .LBB0_212
; %bb.211:                              ;   in Loop: Header=BB0_58 Depth=1
	v_mov_b32_e32 v118, 1
	s_waitcnt lgkmcnt(0)
	ds_write_b32 v0, v9
	s_trap 2
.LBB0_212:                              ;   in Loop: Header=BB0_58 Depth=1
	s_or_b64 exec, exec, s[16:17]
.LBB0_213:                              ;   in Loop: Header=BB0_58 Depth=1
	s_or_b64 exec, exec, s[56:57]
	s_and_saveexec_b64 s[16:17], s[8:9]
	s_cbranch_execz .LBB0_215
; %bb.214:                              ;   in Loop: Header=BB0_58 Depth=1
	v_and_b32_e32 v48, 0x7ffffff8, v8
	v_cmp_eq_u64_e32 vcc, s[40:41], v[48:49]
	v_and_b32_e32 v8, 7, v8
	s_nop 0
	v_cndmask_b32_e32 v9, v12, v114, vcc
	v_lshlrev_b32_e32 v12, 4, v9
	v_ashrrev_i32_e32 v13, 31, v12
	v_mad_u64_u32 v[8:9], s[56:57], v8, 24, v[6:7]
	flat_store_dwordx2 v[8:9], v[12:13] offset:8 sc0 sc1
	s_waitcnt vmcnt(0)
.LBB0_215:                              ;   in Loop: Header=BB0_58 Depth=1
	s_or_b64 exec, exec, s[16:17]
	v_mov_b64_e32 v[8:9], v[10:11]
.LBB0_216:                              ;   in Loop: Header=BB0_58 Depth=1
	s_or_b64 exec, exec, s[46:47]
	s_and_saveexec_b64 s[16:17], s[10:11]
	s_cbranch_execz .LBB0_249
; %bb.217:                              ;   in Loop: Header=BB0_58 Depth=1
	s_and_saveexec_b64 s[46:47], s[26:27]
	s_xor_b64 s[46:47], exec, s[46:47]
	s_cbranch_execz .LBB0_246
; %bb.218:                              ;   in Loop: Header=BB0_58 Depth=1
	s_and_saveexec_b64 s[56:57], s[12:13]
	s_cbranch_execz .LBB0_245
; %bb.219:                              ;   in Loop: Header=BB0_58 Depth=1
	s_mov_b64 s[60:61], exec
	v_mbcnt_lo_u32_b32 v10, s60, 0
	v_mbcnt_hi_u32_b32 v10, s61, v10
	v_cmp_eq_u32_e32 vcc, 0, v10
	buffer_wbl2 sc1
	s_waitcnt vmcnt(0) lgkmcnt(0)
	buffer_inv sc1
	s_and_saveexec_b64 s[58:59], vcc
	s_cbranch_execz .LBB0_221
; %bb.220:                              ;   in Loop: Header=BB0_58 Depth=1
	s_bcnt1_i32_b64 s60, s[60:61]
	v_mov_b32_e32 v48, s60
	ds_add_u64 v0, v[48:49]
	s_trap 2
.LBB0_221:                              ;   in Loop: Header=BB0_58 Depth=1
	s_or_b64 exec, exec, s[58:59]
	s_trap 2
	ds_read_b64 v[10:11], v0
	s_waitcnt lgkmcnt(0)
	v_lshl_add_u64 v[34:35], v[34:35], 0, v[54:55]
	v_cmp_lt_u64_e32 vcc, v[10:11], v[34:35]
	s_and_saveexec_b64 s[58:59], vcc
	s_cbranch_execz .LBB0_244
; %bb.222:                              ;   in Loop: Header=BB0_58 Depth=1
	s_mov_b32 s88, 0
	s_mov_b64 s[60:61], 0
                                        ; implicit-def: $sgpr62_sgpr63
                                        ; implicit-def: $sgpr72_sgpr73
	s_branch .LBB0_224
.LBB0_223:                              ;   in Loop: Header=BB0_224 Depth=2
	s_or_b64 exec, exec, s[76:77]
	s_and_b64 s[74:75], exec, s[78:79]
	s_or_b64 s[60:61], s[74:75], s[60:61]
	s_andn2_b64 s[62:63], s[62:63], exec
	s_and_b64 s[74:75], s[72:73], exec
	s_or_b64 s[62:63], s[62:63], s[74:75]
	s_andn2_b64 exec, exec, s[60:61]
	s_cbranch_execz .LBB0_242
.LBB0_224:                              ;   Parent Loop BB0_58 Depth=1
                                        ; =>  This Inner Loop Header: Depth=2
	s_add_i32 s88, s88, 1
	s_cmpk_lg_i32 s88, 0x2710
	s_cselect_b64 s[74:75], -1, 0
	s_and_b64 vcc, exec, s[74:75]
	s_cbranch_vccz .LBB0_226
; %bb.225:                              ;   in Loop: Header=BB0_224 Depth=2
	s_mov_b64 s[78:79], -1
	s_or_b64 s[72:73], s[72:73], exec
	s_and_saveexec_b64 s[76:77], s[74:75]
	s_cbranch_execz .LBB0_223
	s_branch .LBB0_227
.LBB0_226:                              ;   in Loop: Header=BB0_224 Depth=2
	s_trap 2
	ds_read_b64 v[10:11], v0
	s_andn2_b64 s[74:75], s[74:75], exec
	s_mov_b32 s88, 0
	s_waitcnt lgkmcnt(0)
	flat_load_dword v10, v[10:11] sc0 sc1
	s_waitcnt vmcnt(0) lgkmcnt(0)
	buffer_inv sc0 sc1
	v_cmp_eq_u32_e32 vcc, 0, v10
	s_and_b64 s[76:77], vcc, exec
	s_or_b64 s[74:75], s[74:75], s[76:77]
	s_mov_b64 s[78:79], -1
	s_or_b64 s[72:73], s[72:73], exec
	s_and_saveexec_b64 s[76:77], s[74:75]
	s_cbranch_execz .LBB0_223
.LBB0_227:                              ;   in Loop: Header=BB0_224 Depth=2
	s_sleep 1
	s_trap 2
	ds_read_b64 v[10:11], v0
	s_waitcnt lgkmcnt(0)
	s_andn2_b64 s[72:73], s[72:73], exec
	v_cmp_ge_u64_e32 vcc, v[10:11], v[34:35]
	s_orn2_b64 s[78:79], vcc, exec
	s_branch .LBB0_223
.LBB0_228:                              ;   in Loop: Header=BB0_58 Depth=1
	s_or_b64 exec, exec, s[60:61]
	s_and_saveexec_b64 s[60:61], s[62:63]
	s_xor_b64 s[60:61], exec, s[60:61]
	s_cbranch_execz .LBB0_230
; %bb.229:                              ;   in Loop: Header=BB0_58 Depth=1
	ds_write_b32 v0, v117
	s_trap 2
.LBB0_230:                              ;   in Loop: Header=BB0_58 Depth=1
	s_or_b64 exec, exec, s[58:59]
	;;#ASMSTART
	s_wakeup
	;;#ASMEND
.LBB0_231:                              ;   in Loop: Header=BB0_58 Depth=1
	s_or_b64 exec, exec, s[56:57]
.LBB0_232:                              ;   in Loop: Header=BB0_58 Depth=1
	s_andn2_saveexec_b64 s[46:47], s[46:47]
	s_cbranch_execz .LBB0_234
; %bb.233:                              ;   in Loop: Header=BB0_58 Depth=1
	buffer_wbl2 sc1
	s_waitcnt vmcnt(0) lgkmcnt(0)
	buffer_inv sc1
	s_barrier
.LBB0_234:                              ;   in Loop: Header=BB0_58 Depth=1
	s_or_b64 exec, exec, s[46:47]
	s_or_b64 exec, exec, s[16:17]
	s_and_saveexec_b64 s[16:17], s[14:15]
	s_cbranch_execnz .LBB0_98
	s_branch .LBB0_99
.LBB0_235:                              ;   in Loop: Header=BB0_58 Depth=1
	s_or_b64 exec, exec, s[60:61]
	s_and_saveexec_b64 s[60:61], s[62:63]
	s_xor_b64 s[60:61], exec, s[60:61]
	s_cbranch_execz .LBB0_237
; %bb.236:                              ;   in Loop: Header=BB0_58 Depth=1
	ds_write_b32 v0, v117
	s_trap 2
.LBB0_237:                              ;   in Loop: Header=BB0_58 Depth=1
	s_or_b64 exec, exec, s[58:59]
	;;#ASMSTART
	s_wakeup
	;;#ASMEND
.LBB0_238:                              ;   in Loop: Header=BB0_58 Depth=1
	s_or_b64 exec, exec, s[56:57]
.LBB0_239:                              ;   in Loop: Header=BB0_58 Depth=1
	s_andn2_saveexec_b64 s[46:47], s[46:47]
	s_cbranch_execz .LBB0_241
; %bb.240:                              ;   in Loop: Header=BB0_58 Depth=1
	buffer_wbl2 sc1
	s_waitcnt vmcnt(0) lgkmcnt(0)
	buffer_inv sc1
	s_barrier
.LBB0_241:                              ;   in Loop: Header=BB0_58 Depth=1
	s_or_b64 exec, exec, s[46:47]
	s_or_b64 exec, exec, s[16:17]
	s_and_saveexec_b64 s[16:17], s[14:15]
	s_cbranch_execnz .LBB0_107
	s_branch .LBB0_108
.LBB0_242:                              ;   in Loop: Header=BB0_58 Depth=1
	s_or_b64 exec, exec, s[60:61]
	s_and_saveexec_b64 s[60:61], s[62:63]
	s_xor_b64 s[60:61], exec, s[60:61]
	s_cbranch_execz .LBB0_244
; %bb.243:                              ;   in Loop: Header=BB0_58 Depth=1
	ds_write_b32 v0, v117
	s_trap 2
.LBB0_244:                              ;   in Loop: Header=BB0_58 Depth=1
	s_or_b64 exec, exec, s[58:59]
	;;#ASMSTART
	s_wakeup
	;;#ASMEND
.LBB0_245:                              ;   in Loop: Header=BB0_58 Depth=1
	s_or_b64 exec, exec, s[56:57]
.LBB0_246:                              ;   in Loop: Header=BB0_58 Depth=1
	s_andn2_saveexec_b64 s[46:47], s[46:47]
	s_cbranch_execz .LBB0_248
; %bb.247:                              ;   in Loop: Header=BB0_58 Depth=1
	buffer_wbl2 sc1
	s_waitcnt vmcnt(0) lgkmcnt(0)
	buffer_inv sc1
	s_barrier
.LBB0_248:                              ;   in Loop: Header=BB0_58 Depth=1
	s_or_b64 exec, exec, s[46:47]
.LBB0_249:                              ;   in Loop: Header=BB0_58 Depth=1
	s_or_b64 exec, exec, s[16:17]
	v_sub_u32_e32 v97, v1, v64
	v_cmp_lt_i32_e32 vcc, 0, v97
	v_mov_b32_e32 v96, v0
	s_and_saveexec_b64 s[46:47], vcc
	s_cbranch_execz .LBB0_275
; %bb.250:                              ;   in Loop: Header=BB0_58 Depth=1
	v_and_b32_e32 v10, 7, v26
	v_mul_lo_u32 v12, v10, v114
	v_ashrrev_i32_e32 v13, 31, v12
	v_add_u32_e32 v11, 1, v26
	v_add_u32_e32 v1, v3, v1
	v_lshl_add_u64 v[98:99], v[12:13], 4, v[84:85]
	s_mov_b64 s[56:57], 0
	v_mov_b64_e32 v[100:101], 0
	v_mov_b32_e32 v112, v65
	v_mov_b32_e32 v96, v0
	s_branch .LBB0_252
.LBB0_251:                              ;   in Loop: Header=BB0_252 Depth=2
	v_sub_u32_e32 v97, v97, v66
	v_cmp_gt_i32_e32 vcc, 1, v97
	v_add_u32_e32 v96, v96, v2
	v_lshl_add_u64 v[100:101], v[100:101], 0, v[66:67]
	v_add_u32_e32 v112, v112, v116
	s_or_b64 s[56:57], vcc, s[56:57]
	v_lshl_add_u64 v[98:99], v[98:99], 0, v[70:71]
	s_andn2_b64 exec, exec, s[56:57]
	s_cbranch_execz .LBB0_274
.LBB0_252:                              ;   Parent Loop BB0_58 Depth=1
                                        ; =>  This Inner Loop Header: Depth=2
	v_lshl_add_u64 v[102:103], v[80:81], 0, v[100:101]
	v_and_b32_e32 v12, -4, v102
	v_mov_b32_e32 v13, v103
	global_load_dword v10, v[12:13], off nt
	v_min_u32_e32 v48, 8, v97
	v_and_b32_e32 v102, 3, v102
	v_add_u32_e32 v48, v102, v48
	v_cmp_lt_u32_e32 vcc, 4, v48
	v_mov_b32_e32 v113, 0
	v_mov_b32_e32 v119, 0
	s_and_saveexec_b64 s[16:17], vcc
	s_cbranch_execz .LBB0_254
; %bb.253:                              ;   in Loop: Header=BB0_252 Depth=2
	global_load_dword v119, v[12:13], off offset:4 nt
.LBB0_254:                              ;   in Loop: Header=BB0_252 Depth=2
	s_or_b64 exec, exec, s[16:17]
	v_cmp_lt_u64_e32 vcc, 8, v[48:49]
	s_and_saveexec_b64 s[16:17], vcc
	s_cbranch_execz .LBB0_256
; %bb.255:                              ;   in Loop: Header=BB0_252 Depth=2
	global_load_dword v113, v[12:13], off offset:8 nt
.LBB0_256:                              ;   in Loop: Header=BB0_252 Depth=2
	s_or_b64 exec, exec, s[16:17]
	v_cmp_lt_u32_e32 vcc, 7, v97
	v_lshl_add_u64 v[102:103], v[82:83], 0, v[100:101]
	s_waitcnt vmcnt(0)
	v_alignbit_b32 v10, v119, v10, v112
	v_alignbit_b32 v12, v113, v119, v112
	v_mov_b32_e32 v13, v11
	s_cmp_lg_u64 vcc, exec
	s_mov_b64 s[16:17], -1
	global_store_dwordx4 v[98:99], v[10:13], off
	buffer_wbl2 sc0 sc1
	s_waitcnt vmcnt(0) lgkmcnt(0)
	s_cbranch_scc0 .LBB0_266
; %bb.257:                              ;   in Loop: Header=BB0_252 Depth=2
	v_cmp_ne_u32_e64 s[16:17], v1, v100
	flat_store_byte v[102:103], v10
	s_and_saveexec_b64 s[58:59], s[16:17]
	s_cbranch_execnz .LBB0_268
; %bb.258:                              ;   in Loop: Header=BB0_252 Depth=2
	s_or_b64 exec, exec, s[58:59]
	v_cmp_lt_u32_e64 s[16:17], 2, v97
	s_and_saveexec_b64 s[58:59], s[16:17]
	s_cbranch_execnz .LBB0_269
.LBB0_259:                              ;   in Loop: Header=BB0_252 Depth=2
	s_or_b64 exec, exec, s[58:59]
	v_cmp_lt_u32_e64 s[16:17], 3, v97
	s_and_saveexec_b64 s[58:59], s[16:17]
	s_cbranch_execnz .LBB0_270
.LBB0_260:                              ;   in Loop: Header=BB0_252 Depth=2
	s_or_b64 exec, exec, s[58:59]
	v_cmp_lt_u32_e64 s[16:17], 4, v97
	s_and_saveexec_b64 s[58:59], s[16:17]
	s_cbranch_execnz .LBB0_271
.LBB0_261:                              ;   in Loop: Header=BB0_252 Depth=2
	s_or_b64 exec, exec, s[58:59]
	v_cmp_lt_u32_e64 s[16:17], 5, v97
	s_and_saveexec_b64 s[58:59], s[16:17]
	s_cbranch_execnz .LBB0_272
.LBB0_262:                              ;   in Loop: Header=BB0_252 Depth=2
	s_or_b64 exec, exec, s[58:59]
	v_cmp_lt_u32_e64 s[16:17], 6, v97
	s_and_saveexec_b64 s[58:59], s[16:17]
	s_cbranch_execnz .LBB0_273
.LBB0_263:                              ;   in Loop: Header=BB0_252 Depth=2
	s_or_b64 exec, exec, s[58:59]
	s_and_saveexec_b64 s[16:17], vcc
	s_cbranch_execz .LBB0_265
.LBB0_264:                              ;   in Loop: Header=BB0_252 Depth=2
	v_lshrrev_b32_e32 v13, 24, v12
	flat_store_byte v[102:103], v13 offset:7
.LBB0_265:                              ;   in Loop: Header=BB0_252 Depth=2
	s_or_b64 exec, exec, s[16:17]
	s_mov_b64 s[16:17], 0
.LBB0_266:                              ;   in Loop: Header=BB0_252 Depth=2
	s_and_b64 vcc, exec, s[16:17]
	s_cbranch_vccz .LBB0_251
; %bb.267:                              ;   in Loop: Header=BB0_252 Depth=2
	v_mov_b32_e32 v40, v10
	v_mov_b32_e32 v41, v12
	global_store_dwordx2 v[102:103], v[40:41], off
	s_branch .LBB0_251
.LBB0_268:                              ;   in Loop: Header=BB0_252 Depth=2
	v_lshrrev_b32_e32 v13, 8, v10
	flat_store_byte v[102:103], v13 offset:1
	s_or_b64 exec, exec, s[58:59]
	v_cmp_lt_u32_e64 s[16:17], 2, v97
	s_and_saveexec_b64 s[58:59], s[16:17]
	s_cbranch_execz .LBB0_259
.LBB0_269:                              ;   in Loop: Header=BB0_252 Depth=2
	flat_store_byte_d16_hi v[102:103], v10 offset:2
	s_or_b64 exec, exec, s[58:59]
	v_cmp_lt_u32_e64 s[16:17], 3, v97
	s_and_saveexec_b64 s[58:59], s[16:17]
	s_cbranch_execz .LBB0_260
.LBB0_270:                              ;   in Loop: Header=BB0_252 Depth=2
	v_lshrrev_b32_e32 v13, 24, v10
	flat_store_byte v[102:103], v13 offset:3
	s_or_b64 exec, exec, s[58:59]
	v_cmp_lt_u32_e64 s[16:17], 4, v97
	s_and_saveexec_b64 s[58:59], s[16:17]
	s_cbranch_execz .LBB0_261
.LBB0_271:                              ;   in Loop: Header=BB0_252 Depth=2
	flat_store_byte v[102:103], v12 offset:4
	s_or_b64 exec, exec, s[58:59]
	v_cmp_lt_u32_e64 s[16:17], 5, v97
	s_and_saveexec_b64 s[58:59], s[16:17]
	s_cbranch_execz .LBB0_262
.LBB0_272:                              ;   in Loop: Header=BB0_252 Depth=2
	v_lshrrev_b32_e32 v13, 8, v12
	flat_store_byte v[102:103], v13 offset:5
	s_or_b64 exec, exec, s[58:59]
	v_cmp_lt_u32_e64 s[16:17], 6, v97
	s_and_saveexec_b64 s[58:59], s[16:17]
	s_cbranch_execz .LBB0_263
.LBB0_273:                              ;   in Loop: Header=BB0_252 Depth=2
	flat_store_byte_d16_hi v[102:103], v12 offset:6
	s_or_b64 exec, exec, s[58:59]
	s_and_saveexec_b64 s[16:17], vcc
	s_cbranch_execnz .LBB0_264
	s_branch .LBB0_265
.LBB0_274:                              ;   in Loop: Header=BB0_58 Depth=1
	s_or_b64 exec, exec, s[56:57]
.LBB0_275:                              ;   in Loop: Header=BB0_58 Depth=1
	s_or_b64 exec, exec, s[46:47]
	v_and_b32_e32 v48, 0x7ffffff8, v26
	v_cmp_eq_u64_e32 vcc, s[40:41], v[48:49]
	v_cmp_lt_i32_e64 s[16:17], v96, v114
	s_and_b64 s[46:47], vcc, s[16:17]
	s_and_saveexec_b64 s[16:17], s[46:47]
	s_cbranch_execz .LBB0_278
; %bb.276:                              ;   in Loop: Header=BB0_58 Depth=1
	v_and_b32_e32 v1, 7, v26
	v_mul_lo_u32 v12, v1, v114
	v_ashrrev_i32_e32 v13, 31, v12
	v_ashrrev_i32_e32 v97, 31, v96
	v_lshlrev_b64 v[12:13], 4, v[12:13]
	v_lshl_add_u64 v[12:13], v[96:97], 4, v[12:13]
	v_add_u32_e32 v11, 1, v26
	v_mov_b32_e32 v10, v49
	v_lshl_add_u64 v[98:99], v[24:25], 0, v[12:13]
	s_mov_b64 s[46:47], 0
.LBB0_277:                              ;   Parent Loop BB0_58 Depth=1
                                        ; =>  This Inner Loop Header: Depth=2
	v_add_u32_e32 v96, v96, v2
	v_mov_b32_e32 v12, v10
	v_mov_b32_e32 v13, v11
	v_cmp_ge_i32_e32 vcc, v96, v114
	global_store_dwordx4 v[98:99], v[10:13], off
	s_or_b64 s[46:47], vcc, s[46:47]
	v_lshl_add_u64 v[98:99], v[98:99], 0, v[70:71]
	buffer_wbl2 sc0 sc1
	s_waitcnt vmcnt(0) lgkmcnt(0)
	s_andn2_b64 exec, exec, s[46:47]
	s_cbranch_execnz .LBB0_277
.LBB0_278:                              ;   in Loop: Header=BB0_58 Depth=1
	s_or_b64 exec, exec, s[16:17]
	v_lshl_add_u64 v[26:27], v[26:27], 0, 1
                                        ; implicit-def: $vgpr1
                                        ; implicit-def: $vgpr12
.LBB0_279:                              ;   in Loop: Header=BB0_58 Depth=1
	s_andn2_saveexec_b64 s[44:45], s[44:45]
	s_cbranch_execz .LBB0_56
; %bb.280:                              ;   in Loop: Header=BB0_58 Depth=1
	s_and_saveexec_b64 s[46:47], s[6:7]
	s_cbranch_execz .LBB0_296
; %bb.281:                              ;   in Loop: Header=BB0_58 Depth=1
	v_lshl_add_u64 v[10:11], v[8:9], 0, 1
	s_waitcnt vmcnt(0) lgkmcnt(0)
	v_lshl_add_u64 v[96:97], v[52:53], 0, 8
	v_cmp_lt_u64_e32 vcc, v[96:97], v[10:11]
	s_and_saveexec_b64 s[56:57], vcc
	s_cbranch_execz .LBB0_293
; %bb.282:                              ;   in Loop: Header=BB0_58 Depth=1
	s_mov_b32 s92, 0
	v_cmp_eq_u32_e32 vcc, 0, v118
	s_mov_b64 s[58:59], 0
                                        ; implicit-def: $sgpr60_sgpr61
                                        ; implicit-def: $sgpr62_sgpr63
                                        ; implicit-def: $sgpr72_sgpr73
	s_branch .LBB0_285
.LBB0_283:                              ;   in Loop: Header=BB0_285 Depth=2
	s_or_b64 exec, exec, s[90:91]
	s_andn2_b64 s[16:17], s[72:73], exec
	s_and_b64 s[72:73], s[78:79], exec
	s_or_b64 s[72:73], s[16:17], s[72:73]
	s_andn2_b64 s[16:17], s[62:63], exec
	s_and_b64 s[62:63], s[76:77], exec
	s_or_b64 s[62:63], s[16:17], s[62:63]
.LBB0_284:                              ;   in Loop: Header=BB0_285 Depth=2
	s_or_b64 exec, exec, s[74:75]
	s_and_b64 s[16:17], exec, s[62:63]
	s_or_b64 s[58:59], s[16:17], s[58:59]
	s_andn2_b64 s[16:17], s[60:61], exec
	s_and_b64 s[60:61], s[72:73], exec
	s_or_b64 s[60:61], s[16:17], s[60:61]
	s_andn2_b64 exec, exec, s[58:59]
	s_cbranch_execz .LBB0_290
.LBB0_285:                              ;   Parent Loop BB0_58 Depth=1
                                        ; =>  This Inner Loop Header: Depth=2
	s_sleep 1
	s_waitcnt vmcnt(0) lgkmcnt(0)
	flat_load_dwordx2 v[52:53], v[36:37] sc1
	v_mov_b32_e32 v118, 1
	s_or_b64 s[72:73], s[72:73], exec
	s_or_b64 s[62:63], s[62:63], exec
                                        ; implicit-def: $vgpr9
	s_and_saveexec_b64 s[74:75], vcc
	s_cbranch_execz .LBB0_284
; %bb.286:                              ;   in Loop: Header=BB0_285 Depth=2
	s_add_i32 s92, s92, 1
	s_cmpk_lg_i32 s92, 0x2710
	s_cselect_b64 s[88:89], -1, 0
	s_cmpk_eq_i32 s92, 0x2710
	s_mov_b64 s[76:77], -1
	s_mov_b64 s[78:79], -1
                                        ; implicit-def: $vgpr9
	s_cbranch_scc1 .LBB0_288
; %bb.287:                              ;   in Loop: Header=BB0_285 Depth=2
	v_mov_b32_e32 v118, 1
	s_and_saveexec_b64 s[90:91], s[88:89]
	s_cbranch_execz .LBB0_283
	s_branch .LBB0_289
.LBB0_288:                              ;   in Loop: Header=BB0_285 Depth=2
	s_trap 2
	ds_read_b64 v[96:97], v0
	s_andn2_b64 s[88:89], s[88:89], exec
	s_mov_b32 s92, 0
	s_mov_b64 s[78:79], 0
	s_waitcnt vmcnt(0) lgkmcnt(0)
	flat_load_dword v9, v[96:97] sc0 sc1
	s_waitcnt vmcnt(0) lgkmcnt(0)
	buffer_inv sc0 sc1
	v_cmp_eq_u32_e64 s[16:17], 0, v9
	s_and_b64 s[16:17], s[16:17], exec
	s_or_b64 s[88:89], s[88:89], s[16:17]
	v_mov_b32_e32 v118, 1
	s_and_saveexec_b64 s[90:91], s[88:89]
	s_cbranch_execz .LBB0_283
.LBB0_289:                              ;   in Loop: Header=BB0_285 Depth=2
	s_waitcnt vmcnt(0) lgkmcnt(0)
	v_lshl_add_u64 v[96:97], v[52:53], 0, 8
	v_cmp_ge_u64_e64 s[16:17], v[96:97], v[10:11]
	v_mov_b32_e32 v118, 0
	s_or_b64 s[78:79], s[78:79], exec
	s_orn2_b64 s[76:77], s[16:17], exec
	s_branch .LBB0_283
.LBB0_290:                              ;   in Loop: Header=BB0_58 Depth=1
	s_or_b64 exec, exec, s[58:59]
	s_xor_b64 s[16:17], s[60:61], -1
	s_and_saveexec_b64 s[58:59], s[16:17]
	s_xor_b64 s[16:17], exec, s[58:59]
	s_cbranch_execz .LBB0_292
; %bb.291:                              ;   in Loop: Header=BB0_58 Depth=1
	v_mov_b32_e32 v118, 1
	s_waitcnt lgkmcnt(0)
	ds_write_b32 v0, v9
	s_trap 2
.LBB0_292:                              ;   in Loop: Header=BB0_58 Depth=1
	s_or_b64 exec, exec, s[16:17]
.LBB0_293:                              ;   in Loop: Header=BB0_58 Depth=1
	s_or_b64 exec, exec, s[56:57]
	s_and_saveexec_b64 s[16:17], s[8:9]
	s_cbranch_execz .LBB0_295
; %bb.294:                              ;   in Loop: Header=BB0_58 Depth=1
	v_and_b32_e32 v48, 0x7ffffff8, v8
	v_cmp_eq_u64_e32 vcc, s[40:41], v[48:49]
	v_and_b32_e32 v8, 7, v8
	s_nop 0
	v_cndmask_b32_e32 v9, v12, v114, vcc
	v_lshlrev_b32_e32 v12, 4, v9
	v_ashrrev_i32_e32 v13, 31, v12
	v_mad_u64_u32 v[8:9], s[56:57], v8, 24, v[6:7]
	flat_store_dwordx2 v[8:9], v[12:13] offset:8 sc0 sc1
	s_waitcnt vmcnt(0)
.LBB0_295:                              ;   in Loop: Header=BB0_58 Depth=1
	s_or_b64 exec, exec, s[16:17]
	v_mov_b64_e32 v[8:9], v[10:11]
.LBB0_296:                              ;   in Loop: Header=BB0_58 Depth=1
	s_or_b64 exec, exec, s[46:47]
	s_and_saveexec_b64 s[16:17], s[10:11]
	s_cbranch_execz .LBB0_315
; %bb.297:                              ;   in Loop: Header=BB0_58 Depth=1
	s_and_saveexec_b64 s[46:47], s[26:27]
	s_xor_b64 s[46:47], exec, s[46:47]
	s_cbranch_execz .LBB0_312
; %bb.298:                              ;   in Loop: Header=BB0_58 Depth=1
	s_and_saveexec_b64 s[56:57], s[12:13]
	s_cbranch_execz .LBB0_311
; %bb.299:                              ;   in Loop: Header=BB0_58 Depth=1
	s_mov_b64 s[60:61], exec
	v_mbcnt_lo_u32_b32 v10, s60, 0
	v_mbcnt_hi_u32_b32 v10, s61, v10
	v_cmp_eq_u32_e32 vcc, 0, v10
	buffer_wbl2 sc1
	s_waitcnt vmcnt(0) lgkmcnt(0)
	buffer_inv sc1
	s_and_saveexec_b64 s[58:59], vcc
	s_cbranch_execz .LBB0_301
; %bb.300:                              ;   in Loop: Header=BB0_58 Depth=1
	s_bcnt1_i32_b64 s60, s[60:61]
	v_mov_b32_e32 v48, s60
	ds_add_u64 v0, v[48:49]
	s_trap 2
.LBB0_301:                              ;   in Loop: Header=BB0_58 Depth=1
	s_or_b64 exec, exec, s[58:59]
	s_trap 2
	ds_read_b64 v[10:11], v0
	s_waitcnt lgkmcnt(0)
	v_lshl_add_u64 v[34:35], v[34:35], 0, v[54:55]
	v_cmp_lt_u64_e32 vcc, v[10:11], v[34:35]
	s_and_saveexec_b64 s[58:59], vcc
	s_cbranch_execz .LBB0_310
; %bb.302:                              ;   in Loop: Header=BB0_58 Depth=1
	s_mov_b32 s88, 0
	s_mov_b64 s[60:61], 0
                                        ; implicit-def: $sgpr62_sgpr63
                                        ; implicit-def: $sgpr72_sgpr73
	s_branch .LBB0_304
.LBB0_303:                              ;   in Loop: Header=BB0_304 Depth=2
	s_or_b64 exec, exec, s[76:77]
	s_and_b64 s[74:75], exec, s[78:79]
	s_or_b64 s[60:61], s[74:75], s[60:61]
	s_andn2_b64 s[62:63], s[62:63], exec
	s_and_b64 s[74:75], s[72:73], exec
	s_or_b64 s[62:63], s[62:63], s[74:75]
	s_andn2_b64 exec, exec, s[60:61]
	s_cbranch_execz .LBB0_308
.LBB0_304:                              ;   Parent Loop BB0_58 Depth=1
                                        ; =>  This Inner Loop Header: Depth=2
	s_add_i32 s88, s88, 1
	s_cmpk_lg_i32 s88, 0x2710
	s_cselect_b64 s[74:75], -1, 0
	s_and_b64 vcc, exec, s[74:75]
	s_cbranch_vccz .LBB0_306
; %bb.305:                              ;   in Loop: Header=BB0_304 Depth=2
	s_mov_b64 s[78:79], -1
	s_or_b64 s[72:73], s[72:73], exec
	s_and_saveexec_b64 s[76:77], s[74:75]
	s_cbranch_execz .LBB0_303
	s_branch .LBB0_307
.LBB0_306:                              ;   in Loop: Header=BB0_304 Depth=2
	s_trap 2
	ds_read_b64 v[10:11], v0
	s_andn2_b64 s[74:75], s[74:75], exec
	s_mov_b32 s88, 0
	s_waitcnt lgkmcnt(0)
	flat_load_dword v10, v[10:11] sc0 sc1
	s_waitcnt vmcnt(0) lgkmcnt(0)
	buffer_inv sc0 sc1
	v_cmp_eq_u32_e32 vcc, 0, v10
	s_and_b64 s[76:77], vcc, exec
	s_or_b64 s[74:75], s[74:75], s[76:77]
	s_mov_b64 s[78:79], -1
	s_or_b64 s[72:73], s[72:73], exec
	s_and_saveexec_b64 s[76:77], s[74:75]
	s_cbranch_execz .LBB0_303
.LBB0_307:                              ;   in Loop: Header=BB0_304 Depth=2
	s_sleep 1
	s_trap 2
	ds_read_b64 v[10:11], v0
	s_waitcnt lgkmcnt(0)
	s_andn2_b64 s[72:73], s[72:73], exec
	v_cmp_ge_u64_e32 vcc, v[10:11], v[34:35]
	s_orn2_b64 s[78:79], vcc, exec
	s_branch .LBB0_303
.LBB0_308:                              ;   in Loop: Header=BB0_58 Depth=1
	s_or_b64 exec, exec, s[60:61]
	s_and_saveexec_b64 s[60:61], s[62:63]
	s_xor_b64 s[60:61], exec, s[60:61]
	s_cbranch_execz .LBB0_310
; %bb.309:                              ;   in Loop: Header=BB0_58 Depth=1
	ds_write_b32 v0, v117
	s_trap 2
.LBB0_310:                              ;   in Loop: Header=BB0_58 Depth=1
	s_or_b64 exec, exec, s[58:59]
	;;#ASMSTART
	s_wakeup
	;;#ASMEND
.LBB0_311:                              ;   in Loop: Header=BB0_58 Depth=1
	s_or_b64 exec, exec, s[56:57]
.LBB0_312:                              ;   in Loop: Header=BB0_58 Depth=1
	s_andn2_saveexec_b64 s[46:47], s[46:47]
	s_cbranch_execz .LBB0_314
; %bb.313:                              ;   in Loop: Header=BB0_58 Depth=1
	buffer_wbl2 sc1
	s_waitcnt vmcnt(0) lgkmcnt(0)
	buffer_inv sc1
	s_barrier
.LBB0_314:                              ;   in Loop: Header=BB0_58 Depth=1
	s_or_b64 exec, exec, s[46:47]
.LBB0_315:                              ;   in Loop: Header=BB0_58 Depth=1
	s_or_b64 exec, exec, s[16:17]
	v_sub_u32_e32 v97, v1, v64
	v_cmp_lt_i32_e32 vcc, 0, v97
	v_and_b32_e32 v1, 7, v26
	v_add_u32_e32 v11, 1, v26
	v_mov_b32_e32 v96, v0
	s_and_saveexec_b64 s[16:17], vcc
	s_cbranch_execz .LBB0_323
; %bb.316:                              ;   in Loop: Header=BB0_58 Depth=1
	v_mul_lo_u32 v12, v1, v114
	v_ashrrev_i32_e32 v13, 31, v12
	v_lshl_add_u64 v[98:99], v[12:13], 4, v[84:85]
	s_mov_b64 s[46:47], 0
	v_mov_b32_e32 v102, v65
	v_mov_b64_e32 v[100:101], v[80:81]
	v_mov_b32_e32 v96, v0
	s_branch .LBB0_318
.LBB0_317:                              ;   in Loop: Header=BB0_318 Depth=2
	s_or_b64 exec, exec, s[56:57]
	v_sub_u32_e32 v97, v97, v66
	s_waitcnt vmcnt(0)
	v_alignbit_b32 v10, v112, v10, v102
	v_alignbit_b32 v12, v103, v112, v102
	v_mov_b32_e32 v13, v11
	v_cmp_gt_i32_e32 vcc, 1, v97
	global_store_dwordx4 v[98:99], v[10:13], off
	v_add_u32_e32 v96, v96, v2
	v_lshl_add_u64 v[100:101], v[100:101], 0, v[66:67]
	v_add_u32_e32 v102, v102, v116
	s_or_b64 s[46:47], vcc, s[46:47]
	v_lshl_add_u64 v[98:99], v[98:99], 0, v[70:71]
	buffer_wbl2 sc0 sc1
	s_waitcnt vmcnt(0) lgkmcnt(0)
	s_andn2_b64 exec, exec, s[46:47]
	s_cbranch_execz .LBB0_322
.LBB0_318:                              ;   Parent Loop BB0_58 Depth=1
                                        ; =>  This Inner Loop Header: Depth=2
	v_and_b32_e32 v12, -4, v100
	v_mov_b32_e32 v13, v101
	global_load_dword v10, v[12:13], off nt
	v_min_u32_e32 v48, 8, v97
	v_and_b32_e32 v103, 3, v100
	v_add_u32_e32 v48, v103, v48
	v_cmp_lt_u32_e32 vcc, 4, v48
	v_mov_b32_e32 v103, 0
	v_mov_b32_e32 v112, 0
	s_and_saveexec_b64 s[56:57], vcc
	s_cbranch_execz .LBB0_320
; %bb.319:                              ;   in Loop: Header=BB0_318 Depth=2
	global_load_dword v112, v[12:13], off offset:4 nt
.LBB0_320:                              ;   in Loop: Header=BB0_318 Depth=2
	s_or_b64 exec, exec, s[56:57]
	v_cmp_lt_u64_e32 vcc, 8, v[48:49]
	s_and_saveexec_b64 s[56:57], vcc
	s_cbranch_execz .LBB0_317
; %bb.321:                              ;   in Loop: Header=BB0_318 Depth=2
	global_load_dword v103, v[12:13], off offset:8 nt
	s_branch .LBB0_317
.LBB0_322:                              ;   in Loop: Header=BB0_58 Depth=1
	s_or_b64 exec, exec, s[46:47]
.LBB0_323:                              ;   in Loop: Header=BB0_58 Depth=1
	s_or_b64 exec, exec, s[16:17]
	v_and_b32_e32 v48, 0x7ffffff8, v26
	v_cmp_eq_u64_e32 vcc, s[40:41], v[48:49]
	v_cmp_lt_i32_e64 s[16:17], v96, v114
	s_and_b64 s[46:47], vcc, s[16:17]
	s_and_saveexec_b64 s[16:17], s[46:47]
	s_cbranch_execz .LBB0_55
; %bb.324:                              ;   in Loop: Header=BB0_58 Depth=1
	v_mul_lo_u32 v12, v1, v114
	v_ashrrev_i32_e32 v13, 31, v12
	v_ashrrev_i32_e32 v97, 31, v96
	v_lshlrev_b64 v[12:13], 4, v[12:13]
	v_lshl_add_u64 v[12:13], v[96:97], 4, v[12:13]
	v_mov_b32_e32 v10, v49
	v_lshl_add_u64 v[98:99], v[24:25], 0, v[12:13]
	s_mov_b64 s[46:47], 0
.LBB0_325:                              ;   Parent Loop BB0_58 Depth=1
                                        ; =>  This Inner Loop Header: Depth=2
	v_add_u32_e32 v96, v96, v2
	v_mov_b32_e32 v12, v10
	v_mov_b32_e32 v13, v11
	v_cmp_ge_i32_e32 vcc, v96, v114
	global_store_dwordx4 v[98:99], v[10:13], off
	s_or_b64 s[46:47], vcc, s[46:47]
	v_lshl_add_u64 v[98:99], v[98:99], 0, v[70:71]
	buffer_wbl2 sc0 sc1
	s_waitcnt vmcnt(0) lgkmcnt(0)
	s_andn2_b64 exec, exec, s[46:47]
	s_cbranch_execnz .LBB0_325
	s_branch .LBB0_55
.LBB0_326:
	s_or_b64 exec, exec, s[24:25]
	s_or_b64 exec, exec, s[22:23]
	s_and_saveexec_b64 s[2:3], s[20:21]
	s_cbranch_execz .LBB0_52
.LBB0_327:
	s_waitcnt lgkmcnt(0)
	flat_store_dwordx2 v[18:19], v[28:29] offset:104
	s_or_b64 exec, exec, s[2:3]
	s_and_saveexec_b64 s[2:3], s[0:1]
	s_cbranch_execz .LBB0_53
.LBB0_328:
	s_waitcnt lgkmcnt(0)
	flat_store_dwordx2 v[16:17], v[8:9] offset:104
	s_or_b64 exec, exec, s[2:3]
	v_cmp_ne_u32_e32 vcc, 64, v2
	s_and_saveexec_b64 s[0:1], vcc
	s_cbranch_execz .LBB0_346
.LBB0_329:
	v_cmp_ne_u32_sdwa s[2:3], v2, v30 src0_sel:DWORD src1_sel:WORD_0
	s_and_saveexec_b64 s[4:5], s[2:3]
	s_xor_b64 s[2:3], exec, s[4:5]
	s_cbranch_execz .LBB0_344
; %bb.330:
	v_and_b32_e32 v0, 63, v31
	v_cmp_eq_u32_e32 vcc, 0, v0
	s_and_saveexec_b64 s[4:5], vcc
	s_cbranch_execz .LBB0_343
; %bb.331:
	s_mov_b64 s[8:9], exec
	v_mbcnt_lo_u32_b32 v0, s8, 0
	v_mbcnt_hi_u32_b32 v0, s9, v0
	v_cmp_eq_u32_e32 vcc, 0, v0
	buffer_wbl2 sc1
	s_waitcnt vmcnt(0) lgkmcnt(0)
	buffer_inv sc1
	s_and_saveexec_b64 s[6:7], vcc
	s_cbranch_execz .LBB0_333
; %bb.332:
	s_bcnt1_i32_b64 s8, s[8:9]
	v_mov_b32_e32 v0, s8
	v_mov_b32_e32 v1, 0
	ds_add_u64 v0, v[0:1]
	s_trap 2
.LBB0_333:
	s_or_b64 exec, exec, s[6:7]
	s_trap 2
	ds_read_b64 v[4:5], v0
	s_waitcnt lgkmcnt(0)
	v_lshrrev_b32_e32 v0, 6, v2
	v_mov_b32_e32 v1, 0
	v_lshl_add_u64 v[0:1], v[34:35], 0, v[0:1]
	v_cmp_lt_u64_e32 vcc, v[4:5], v[0:1]
	s_and_saveexec_b64 s[6:7], vcc
	s_cbranch_execz .LBB0_342
; %bb.334:
	s_mov_b32 s22, 0
	s_mov_b64 s[8:9], 0
                                        ; implicit-def: $sgpr10_sgpr11
                                        ; implicit-def: $sgpr12_sgpr13
	s_branch .LBB0_336
.LBB0_335:                              ;   in Loop: Header=BB0_336 Depth=1
	s_or_b64 exec, exec, s[16:17]
	s_and_b64 s[14:15], exec, s[20:21]
	s_or_b64 s[8:9], s[14:15], s[8:9]
	s_andn2_b64 s[10:11], s[10:11], exec
	s_and_b64 s[14:15], s[12:13], exec
	s_or_b64 s[10:11], s[10:11], s[14:15]
	s_andn2_b64 exec, exec, s[8:9]
	s_cbranch_execz .LBB0_340
.LBB0_336:                              ; =>This Inner Loop Header: Depth=1
	s_add_i32 s22, s22, 1
	s_cmpk_lg_i32 s22, 0x2710
	s_cselect_b64 s[14:15], -1, 0
	s_and_b64 vcc, exec, s[14:15]
	s_cbranch_vccz .LBB0_338
; %bb.337:                              ;   in Loop: Header=BB0_336 Depth=1
	s_mov_b64 s[20:21], -1
	s_or_b64 s[12:13], s[12:13], exec
	s_and_saveexec_b64 s[16:17], s[14:15]
	s_cbranch_execz .LBB0_335
	s_branch .LBB0_339
.LBB0_338:                              ;   in Loop: Header=BB0_336 Depth=1
	s_trap 2
	ds_read_b64 v[2:3], v0
	s_andn2_b64 s[14:15], s[14:15], exec
	s_mov_b32 s22, 0
	s_waitcnt lgkmcnt(0)
	flat_load_dword v2, v[2:3] sc0 sc1
	s_waitcnt vmcnt(0) lgkmcnt(0)
	buffer_inv sc0 sc1
	v_cmp_eq_u32_e32 vcc, 0, v2
	s_and_b64 s[16:17], vcc, exec
	s_or_b64 s[14:15], s[14:15], s[16:17]
	s_mov_b64 s[20:21], -1
	s_or_b64 s[12:13], s[12:13], exec
	s_and_saveexec_b64 s[16:17], s[14:15]
	s_cbranch_execz .LBB0_335
.LBB0_339:                              ;   in Loop: Header=BB0_336 Depth=1
	s_sleep 1
	s_trap 2
	ds_read_b64 v[2:3], v0
	s_waitcnt lgkmcnt(0)
	s_andn2_b64 s[12:13], s[12:13], exec
	v_cmp_ge_u64_e32 vcc, v[2:3], v[0:1]
	s_orn2_b64 s[20:21], vcc, exec
	s_branch .LBB0_335
.LBB0_340:
	s_or_b64 exec, exec, s[8:9]
	s_and_saveexec_b64 s[8:9], s[10:11]
	s_xor_b64 s[8:9], exec, s[8:9]
	s_cbranch_execz .LBB0_342
; %bb.341:
	v_mov_b32_e32 v0, 1
	ds_write_b32 v0, v0
	s_trap 2
.LBB0_342:
	s_or_b64 exec, exec, s[6:7]
	;;#ASMSTART
	s_wakeup
	;;#ASMEND
.LBB0_343:
	s_or_b64 exec, exec, s[4:5]
.LBB0_344:
	s_andn2_saveexec_b64 s[2:3], s[2:3]
	s_cbranch_execz .LBB0_346
; %bb.345:
	buffer_wbl2 sc1
	s_waitcnt vmcnt(0) lgkmcnt(0)
	buffer_inv sc1
	s_barrier
.LBB0_346:
	s_or_b64 exec, exec, s[0:1]
	s_or_b64 exec, exec, s[18:19]
	scratch_load_dword v41, off, s32        ; 4-byte Folded Reload
	scratch_load_dword v40, off, s32 offset:4 ; 4-byte Folded Reload
	s_waitcnt vmcnt(0) lgkmcnt(0)
	s_setpc_b64 s[30:31]
.Lfunc_end0:
	.size	_ZN12_GLOBAL__N_17runRingIa7FuncSumIaE7ProtoLLLi0ELi1ELi0EEEviiP15ncclDevWorkColl, .Lfunc_end0-_ZN12_GLOBAL__N_17runRingIa7FuncSumIaE7ProtoLLLi0ELi1ELi0EEEviiP15ncclDevWorkColl
                                        ; -- End function
	.set .L_ZN12_GLOBAL__N_17runRingIa7FuncSumIaE7ProtoLLLi0ELi1ELi0EEEviiP15ncclDevWorkColl.num_vgpr, 120
	.set .L_ZN12_GLOBAL__N_17runRingIa7FuncSumIaE7ProtoLLLi0ELi1ELi0EEEviiP15ncclDevWorkColl.num_agpr, 0
	.set .L_ZN12_GLOBAL__N_17runRingIa7FuncSumIaE7ProtoLLLi0ELi1ELi0EEEviiP15ncclDevWorkColl.numbered_sgpr, 93
	.set .L_ZN12_GLOBAL__N_17runRingIa7FuncSumIaE7ProtoLLLi0ELi1ELi0EEEviiP15ncclDevWorkColl.num_named_barrier, 0
	.set .L_ZN12_GLOBAL__N_17runRingIa7FuncSumIaE7ProtoLLLi0ELi1ELi0EEEviiP15ncclDevWorkColl.private_seg_size, 12
	.set .L_ZN12_GLOBAL__N_17runRingIa7FuncSumIaE7ProtoLLLi0ELi1ELi0EEEviiP15ncclDevWorkColl.uses_vcc, 1
	.set .L_ZN12_GLOBAL__N_17runRingIa7FuncSumIaE7ProtoLLLi0ELi1ELi0EEEviiP15ncclDevWorkColl.uses_flat_scratch, 0
	.set .L_ZN12_GLOBAL__N_17runRingIa7FuncSumIaE7ProtoLLLi0ELi1ELi0EEEviiP15ncclDevWorkColl.has_dyn_sized_stack, 0
	.set .L_ZN12_GLOBAL__N_17runRingIa7FuncSumIaE7ProtoLLLi0ELi1ELi0EEEviiP15ncclDevWorkColl.has_recursion, 0
	.set .L_ZN12_GLOBAL__N_17runRingIa7FuncSumIaE7ProtoLLLi0ELi1ELi0EEEviiP15ncclDevWorkColl.has_indirect_call, 0
	.section	.AMDGPU.csdata,"",@progbits
; Function info:
; codeLenInByte = 9976
; TotalNumSgprs: 99
; NumVgprs: 120
; NumAgprs: 0
; TotalNumVgprs: 120
; ScratchSize: 12
; MemoryBound: 1
	.text
	.p2align	2                               ; -- Begin function _Z42ncclDevFunc_Broadcast_RING_LL_Sum_i8_0_0_1v
	.type	_Z42ncclDevFunc_Broadcast_RING_LL_Sum_i8_0_0_1v,@function
_Z42ncclDevFunc_Broadcast_RING_LL_Sum_i8_0_0_1v: ; @_Z42ncclDevFunc_Broadcast_RING_LL_Sum_i8_0_0_1v
; %bb.0:
	s_waitcnt vmcnt(0) expcnt(0) lgkmcnt(0)
	s_mov_b32 s0, s33
	s_mov_b32 s33, s32
	s_or_saveexec_b64 s[2:3], -1
	scratch_store_dword off, v43, s33 offset:12 ; 4-byte Folded Spill
	s_mov_b64 exec, s[2:3]
	v_writelane_b32 v43, s0, 5
	s_add_i32 s32, s32, 32
	scratch_store_dword off, v40, s33 offset:8 ; 4-byte Folded Spill
	scratch_store_dword off, v41, s33 offset:4 ; 4-byte Folded Spill
	scratch_store_dword off, v42, s33       ; 4-byte Folded Spill
	v_writelane_b32 v43, s34, 0
	v_writelane_b32 v43, s35, 1
	;; [unrolled: 1-line block ×4, first 2 shown]
	s_nop 1
	v_writelane_b32 v43, s31, 4
	s_trap 2
	ds_read_b32 v0, v0
	v_mov_b32_e32 v40, v31
	s_waitcnt lgkmcnt(0)
	v_cmp_gt_i32_e32 vcc, 1, v0
	s_cbranch_vccnz .LBB1_8
; %bb.1:
	s_mov_b32 s93, s12
	s_mov_b64 s[94:95], s[8:9]
	s_mov_b32 s36, 0
	v_and_b32_e32 v41, 0x3ff, v40
	v_mov_b32_e32 v42, 6
	s_branch .LBB1_3
.LBB1_2:                                ;   in Loop: Header=BB1_3 Depth=1
	s_or_b64 exec, exec, s[34:35]
	s_trap 2
	ds_read_b32 v0, v0
	s_add_i32 s36, s36, 1
	s_waitcnt lgkmcnt(0)
	v_cmp_lt_i32_e32 vcc, s36, v0
	s_cbranch_vccz .LBB1_8
.LBB1_3:                                ; =>This Inner Loop Header: Depth=1
	s_trap 2
	ds_read_b32 v0, v0
	s_cmp_eq_u32 s36, 0
	s_cbranch_scc1 .LBB1_6
; %bb.4:                                ;   in Loop: Header=BB1_3 Depth=1
	s_trap 2
	s_waitcnt lgkmcnt(0)
	ds_read_b32 v1, v0
	s_waitcnt lgkmcnt(0)
	v_xor_b32_e32 v1, v1, v0
	v_and_b32_e32 v1, 0xff0000, v1
	v_cmp_eq_u32_e32 vcc, 0, v1
	s_cbranch_vccnz .LBB1_6
; %bb.5:                                ;   in Loop: Header=BB1_3 Depth=1
	s_barrier
	ds_read_b32 v0, v0
.LBB1_6:                                ;   in Loop: Header=BB1_3 Depth=1
	s_waitcnt lgkmcnt(0)
	v_lshlrev_b32_sdwa v1, v42, v0 dst_sel:DWORD dst_unused:UNUSED_PAD src0_sel:DWORD src1_sel:BYTE_2
	v_cmp_lt_u32_e32 vcc, v41, v1
	s_and_saveexec_b64 s[34:35], vcc
	s_cbranch_execz .LBB1_2
; %bb.7:                                ;   in Loop: Header=BB1_3 Depth=1
	s_mov_b64 s[0:1], src_shared_base
	s_getpc_b64 s[2:3]
	s_add_u32 s2, s2, _ZN12_GLOBAL__N_17runRingIa7FuncSumIaE7ProtoLLLi0ELi1ELi0EEEviiP15ncclDevWorkColl@rel32@lo+4
	s_addc_u32 s3, s3, _ZN12_GLOBAL__N_17runRingIa7FuncSumIaE7ProtoLLLi0ELi1ELi0EEEviiP15ncclDevWorkColl@rel32@hi+12
	s_mov_b64 s[8:9], s[94:95]
	s_mov_b32 s12, s93
	v_mov_b32_e32 v31, v40
	v_mov_b32_e32 v0, v41
	;; [unrolled: 1-line block ×3, first 2 shown]
	s_swappc_b64 s[30:31], s[2:3]
	s_branch .LBB1_2
.LBB1_8:
	scratch_load_dword v42, off, s33        ; 4-byte Folded Reload
	scratch_load_dword v41, off, s33 offset:4 ; 4-byte Folded Reload
	scratch_load_dword v40, off, s33 offset:8 ; 4-byte Folded Reload
	v_readlane_b32 s30, v43, 3
	v_readlane_b32 s31, v43, 4
	;; [unrolled: 1-line block ×5, first 2 shown]
	s_mov_b32 s32, s33
	v_readlane_b32 s0, v43, 5
	s_or_saveexec_b64 s[2:3], -1
	scratch_load_dword v43, off, s33 offset:12 ; 4-byte Folded Reload
	s_mov_b64 exec, s[2:3]
	s_mov_b32 s33, s0
	s_waitcnt vmcnt(0)
	s_setpc_b64 s[30:31]
.Lfunc_end1:
	.size	_Z42ncclDevFunc_Broadcast_RING_LL_Sum_i8_0_0_1v, .Lfunc_end1-_Z42ncclDevFunc_Broadcast_RING_LL_Sum_i8_0_0_1v
                                        ; -- End function
	.set .L_Z42ncclDevFunc_Broadcast_RING_LL_Sum_i8_0_0_1v.num_vgpr, max(44, .L_ZN12_GLOBAL__N_17runRingIa7FuncSumIaE7ProtoLLLi0ELi1ELi0EEEviiP15ncclDevWorkColl.num_vgpr)
	.set .L_Z42ncclDevFunc_Broadcast_RING_LL_Sum_i8_0_0_1v.num_agpr, max(0, .L_ZN12_GLOBAL__N_17runRingIa7FuncSumIaE7ProtoLLLi0ELi1ELi0EEEviiP15ncclDevWorkColl.num_agpr)
	.set .L_Z42ncclDevFunc_Broadcast_RING_LL_Sum_i8_0_0_1v.numbered_sgpr, max(96, .L_ZN12_GLOBAL__N_17runRingIa7FuncSumIaE7ProtoLLLi0ELi1ELi0EEEviiP15ncclDevWorkColl.numbered_sgpr)
	.set .L_Z42ncclDevFunc_Broadcast_RING_LL_Sum_i8_0_0_1v.num_named_barrier, max(0, .L_ZN12_GLOBAL__N_17runRingIa7FuncSumIaE7ProtoLLLi0ELi1ELi0EEEviiP15ncclDevWorkColl.num_named_barrier)
	.set .L_Z42ncclDevFunc_Broadcast_RING_LL_Sum_i8_0_0_1v.private_seg_size, 32+max(.L_ZN12_GLOBAL__N_17runRingIa7FuncSumIaE7ProtoLLLi0ELi1ELi0EEEviiP15ncclDevWorkColl.private_seg_size)
	.set .L_Z42ncclDevFunc_Broadcast_RING_LL_Sum_i8_0_0_1v.uses_vcc, or(1, .L_ZN12_GLOBAL__N_17runRingIa7FuncSumIaE7ProtoLLLi0ELi1ELi0EEEviiP15ncclDevWorkColl.uses_vcc)
	.set .L_Z42ncclDevFunc_Broadcast_RING_LL_Sum_i8_0_0_1v.uses_flat_scratch, or(0, .L_ZN12_GLOBAL__N_17runRingIa7FuncSumIaE7ProtoLLLi0ELi1ELi0EEEviiP15ncclDevWorkColl.uses_flat_scratch)
	.set .L_Z42ncclDevFunc_Broadcast_RING_LL_Sum_i8_0_0_1v.has_dyn_sized_stack, or(0, .L_ZN12_GLOBAL__N_17runRingIa7FuncSumIaE7ProtoLLLi0ELi1ELi0EEEviiP15ncclDevWorkColl.has_dyn_sized_stack)
	.set .L_Z42ncclDevFunc_Broadcast_RING_LL_Sum_i8_0_0_1v.has_recursion, or(1, .L_ZN12_GLOBAL__N_17runRingIa7FuncSumIaE7ProtoLLLi0ELi1ELi0EEEviiP15ncclDevWorkColl.has_recursion)
	.set .L_Z42ncclDevFunc_Broadcast_RING_LL_Sum_i8_0_0_1v.has_indirect_call, or(0, .L_ZN12_GLOBAL__N_17runRingIa7FuncSumIaE7ProtoLLLi0ELi1ELi0EEEviiP15ncclDevWorkColl.has_indirect_call)
	.section	.AMDGPU.csdata,"",@progbits
; Function info:
; codeLenInByte = 448
; TotalNumSgprs: 102
; NumVgprs: 120
; NumAgprs: 0
; TotalNumVgprs: 120
; ScratchSize: 44
; MemoryBound: 0
	.text
	.p2align	2                               ; -- Begin function __ockl_fprintf_append_string_n
	.type	__ockl_fprintf_append_string_n,@function
__ockl_fprintf_append_string_n:         ; @__ockl_fprintf_append_string_n
; %bb.0:
	s_waitcnt vmcnt(0) expcnt(0) lgkmcnt(0)
	v_or_b32_e32 v2, 2, v0
	v_cmp_eq_u32_e32 vcc, 0, v6
	s_getpc_b64 s[0:1]
	s_add_u32 s0, s0, .str.5@rel32@lo+4
	s_addc_u32 s1, s1, .str.5@rel32@hi+12
	s_mov_b32 s16, 0
	v_cndmask_b32_e32 v3, v2, v0, vcc
	s_mov_b64 s[2:3], 0
	s_cmp_lg_u64 s[0:1], 0
	v_mbcnt_lo_u32_b32 v33, -1, 0
	s_cbranch_scc0 .LBB2_112
; %bb.1:
	s_load_dwordx2 s[4:5], s[8:9], 0x50
	v_and_b32_e32 v0, -3, v3
	s_getpc_b64 s[0:1]
	s_add_u32 s0, s0, .str.5@rel32@lo+4
	s_addc_u32 s1, s1, .str.5@rel32@hi+12
	v_and_b32_e32 v2, 2, v3
	v_mov_b32_e32 v31, 0
	v_mbcnt_hi_u32_b32 v32, -1, v33
	v_mov_b64_e32 v[34:35], s[0:1]
	s_movk_i32 s17, 0x1e0
	v_mov_b32_e32 v8, 2
	v_mov_b32_e32 v9, 1
	v_mov_b64_e32 v[10:11], v[0:1]
	s_branch .LBB2_3
.LBB2_2:                                ;   in Loop: Header=BB2_3 Depth=1
	s_or_b64 exec, exec, s[10:11]
	v_sub_co_u32_e32 v4, vcc, v4, v36
	v_lshl_add_u64 v[34:35], v[34:35], 0, v[36:37]
	s_nop 0
	v_subb_co_u32_e32 v5, vcc, v5, v37, vcc
	v_cmp_eq_u64_e32 vcc, 0, v[4:5]
	s_or_b64 s[2:3], vcc, s[2:3]
	s_andn2_b64 exec, exec, s[2:3]
	s_cbranch_execz .LBB2_85
.LBB2_3:                                ; =>This Loop Header: Depth=1
                                        ;     Child Loop BB2_6 Depth 2
                                        ;     Child Loop BB2_14 Depth 2
                                        ;     Child Loop BB2_22 Depth 2
                                        ;     Child Loop BB2_30 Depth 2
                                        ;     Child Loop BB2_38 Depth 2
                                        ;     Child Loop BB2_46 Depth 2
                                        ;     Child Loop BB2_54 Depth 2
                                        ;     Child Loop BB2_62 Depth 2
                                        ;     Child Loop BB2_70 Depth 2
                                        ;     Child Loop BB2_79 Depth 2
                                        ;     Child Loop BB2_84 Depth 2
	v_cmp_gt_u64_e32 vcc, 56, v[4:5]
	v_lshl_add_u64 v[16:17], v[34:35], 0, 8
	s_nop 0
	v_cndmask_b32_e32 v37, 0, v5, vcc
	v_cndmask_b32_e32 v36, 56, v4, vcc
	v_cmp_gt_u64_e32 vcc, 8, v[4:5]
	s_and_saveexec_b64 s[0:1], vcc
	s_xor_b64 s[0:1], exec, s[0:1]
	s_cbranch_execz .LBB2_9
; %bb.4:                                ;   in Loop: Header=BB2_3 Depth=1
	s_waitcnt vmcnt(0)
	v_mov_b64_e32 v[12:13], 0
	v_cmp_ne_u64_e32 vcc, 0, v[4:5]
	s_and_saveexec_b64 s[6:7], vcc
	s_cbranch_execz .LBB2_8
; %bb.5:                                ;   in Loop: Header=BB2_3 Depth=1
	v_lshlrev_b64 v[6:7], 3, v[36:37]
	s_mov_b64 s[10:11], 0
	v_mov_b64_e32 v[12:13], 0
	v_mov_b64_e32 v[14:15], v[34:35]
	s_mov_b64 s[12:13], 0
.LBB2_6:                                ;   Parent Loop BB2_3 Depth=1
                                        ; =>  This Inner Loop Header: Depth=2
	global_load_ubyte v0, v[14:15], off
	v_mov_b32_e32 v17, s16
	v_lshl_add_u64 v[14:15], v[14:15], 0, 1
	s_waitcnt vmcnt(0)
	v_and_b32_e32 v16, 0xffff, v0
	v_lshlrev_b64 v[16:17], s12, v[16:17]
	s_add_u32 s12, s12, 8
	s_addc_u32 s13, s13, 0
	v_cmp_eq_u32_e32 vcc, s12, v6
	v_or_b32_e32 v13, v17, v13
	s_or_b64 s[10:11], vcc, s[10:11]
	v_or_b32_e32 v12, v16, v12
	s_andn2_b64 exec, exec, s[10:11]
	s_cbranch_execnz .LBB2_6
; %bb.7:                                ;   in Loop: Header=BB2_3 Depth=1
	s_or_b64 exec, exec, s[10:11]
.LBB2_8:                                ;   in Loop: Header=BB2_3 Depth=1
	s_or_b64 exec, exec, s[6:7]
	v_mov_b64_e32 v[16:17], v[34:35]
.LBB2_9:                                ;   in Loop: Header=BB2_3 Depth=1
	s_or_saveexec_b64 s[0:1], s[0:1]
	v_mov_b32_e32 v0, 0
	s_xor_b64 exec, exec, s[0:1]
	s_cbranch_execz .LBB2_11
; %bb.10:                               ;   in Loop: Header=BB2_3 Depth=1
	global_load_dwordx2 v[12:13], v[34:35], off
	v_add_u32_e32 v0, -8, v36
.LBB2_11:                               ;   in Loop: Header=BB2_3 Depth=1
	s_or_b64 exec, exec, s[0:1]
	v_cmp_gt_u32_e32 vcc, 8, v0
	v_lshl_add_u64 v[6:7], v[16:17], 0, 8
                                        ; implicit-def: $vgpr14_vgpr15
	s_and_saveexec_b64 s[0:1], vcc
	s_xor_b64 s[0:1], exec, s[0:1]
	s_cbranch_execz .LBB2_17
; %bb.12:                               ;   in Loop: Header=BB2_3 Depth=1
	v_cmp_ne_u32_e32 vcc, 0, v0
	v_mov_b64_e32 v[14:15], 0
	s_and_saveexec_b64 s[6:7], vcc
	s_cbranch_execz .LBB2_16
; %bb.13:                               ;   in Loop: Header=BB2_3 Depth=1
	s_mov_b64 s[10:11], 0
	v_mov_b64_e32 v[14:15], 0
	s_mov_b64 s[12:13], 0
	s_mov_b64 s[14:15], 0
.LBB2_14:                               ;   Parent Loop BB2_3 Depth=1
                                        ; =>  This Inner Loop Header: Depth=2
	v_lshl_add_u64 v[6:7], v[16:17], 0, s[14:15]
	global_load_ubyte v6, v[6:7], off
	s_add_u32 s14, s14, 1
	v_mov_b32_e32 v7, s16
	s_addc_u32 s15, s15, 0
	v_cmp_eq_u32_e32 vcc, s14, v0
	s_waitcnt vmcnt(0)
	v_and_b32_e32 v6, 0xffff, v6
	v_lshlrev_b64 v[6:7], s12, v[6:7]
	s_add_u32 s12, s12, 8
	s_addc_u32 s13, s13, 0
	v_or_b32_e32 v15, v7, v15
	s_or_b64 s[10:11], vcc, s[10:11]
	v_or_b32_e32 v14, v6, v14
	s_andn2_b64 exec, exec, s[10:11]
	s_cbranch_execnz .LBB2_14
; %bb.15:                               ;   in Loop: Header=BB2_3 Depth=1
	s_or_b64 exec, exec, s[10:11]
.LBB2_16:                               ;   in Loop: Header=BB2_3 Depth=1
	s_or_b64 exec, exec, s[6:7]
	v_mov_b64_e32 v[6:7], v[16:17]
                                        ; implicit-def: $vgpr0
.LBB2_17:                               ;   in Loop: Header=BB2_3 Depth=1
	s_or_saveexec_b64 s[0:1], s[0:1]
	v_mov_b32_e32 v18, 0
	s_xor_b64 exec, exec, s[0:1]
	s_cbranch_execz .LBB2_19
; %bb.18:                               ;   in Loop: Header=BB2_3 Depth=1
	global_load_dwordx2 v[14:15], v[16:17], off
	v_add_u32_e32 v18, -8, v0
.LBB2_19:                               ;   in Loop: Header=BB2_3 Depth=1
	s_or_b64 exec, exec, s[0:1]
	v_cmp_gt_u32_e32 vcc, 8, v18
	v_lshl_add_u64 v[20:21], v[6:7], 0, 8
	s_and_saveexec_b64 s[0:1], vcc
	s_xor_b64 s[0:1], exec, s[0:1]
	s_cbranch_execz .LBB2_25
; %bb.20:                               ;   in Loop: Header=BB2_3 Depth=1
	v_cmp_ne_u32_e32 vcc, 0, v18
	v_mov_b64_e32 v[16:17], 0
	s_and_saveexec_b64 s[6:7], vcc
	s_cbranch_execz .LBB2_24
; %bb.21:                               ;   in Loop: Header=BB2_3 Depth=1
	s_mov_b64 s[10:11], 0
	v_mov_b64_e32 v[16:17], 0
	s_mov_b64 s[12:13], 0
	s_mov_b64 s[14:15], 0
.LBB2_22:                               ;   Parent Loop BB2_3 Depth=1
                                        ; =>  This Inner Loop Header: Depth=2
	v_lshl_add_u64 v[20:21], v[6:7], 0, s[14:15]
	global_load_ubyte v0, v[20:21], off
	s_add_u32 s14, s14, 1
	v_mov_b32_e32 v21, s16
	s_addc_u32 s15, s15, 0
	v_cmp_eq_u32_e32 vcc, s14, v18
	s_waitcnt vmcnt(0)
	v_and_b32_e32 v20, 0xffff, v0
	v_lshlrev_b64 v[20:21], s12, v[20:21]
	s_add_u32 s12, s12, 8
	s_addc_u32 s13, s13, 0
	v_or_b32_e32 v17, v21, v17
	s_or_b64 s[10:11], vcc, s[10:11]
	v_or_b32_e32 v16, v20, v16
	s_andn2_b64 exec, exec, s[10:11]
	s_cbranch_execnz .LBB2_22
; %bb.23:                               ;   in Loop: Header=BB2_3 Depth=1
	s_or_b64 exec, exec, s[10:11]
.LBB2_24:                               ;   in Loop: Header=BB2_3 Depth=1
	s_or_b64 exec, exec, s[6:7]
	v_mov_b64_e32 v[20:21], v[6:7]
                                        ; implicit-def: $vgpr18
.LBB2_25:                               ;   in Loop: Header=BB2_3 Depth=1
	s_or_saveexec_b64 s[0:1], s[0:1]
	v_mov_b32_e32 v0, 0
	s_xor_b64 exec, exec, s[0:1]
	s_cbranch_execz .LBB2_27
; %bb.26:                               ;   in Loop: Header=BB2_3 Depth=1
	global_load_dwordx2 v[16:17], v[6:7], off
	v_add_u32_e32 v0, -8, v18
.LBB2_27:                               ;   in Loop: Header=BB2_3 Depth=1
	s_or_b64 exec, exec, s[0:1]
	v_cmp_gt_u32_e32 vcc, 8, v0
	v_lshl_add_u64 v[6:7], v[20:21], 0, 8
                                        ; implicit-def: $vgpr18_vgpr19
	s_and_saveexec_b64 s[0:1], vcc
	s_xor_b64 s[0:1], exec, s[0:1]
	s_cbranch_execz .LBB2_33
; %bb.28:                               ;   in Loop: Header=BB2_3 Depth=1
	v_cmp_ne_u32_e32 vcc, 0, v0
	v_mov_b64_e32 v[18:19], 0
	s_and_saveexec_b64 s[6:7], vcc
	s_cbranch_execz .LBB2_32
; %bb.29:                               ;   in Loop: Header=BB2_3 Depth=1
	s_mov_b64 s[10:11], 0
	v_mov_b64_e32 v[18:19], 0
	s_mov_b64 s[12:13], 0
	s_mov_b64 s[14:15], 0
.LBB2_30:                               ;   Parent Loop BB2_3 Depth=1
                                        ; =>  This Inner Loop Header: Depth=2
	v_lshl_add_u64 v[6:7], v[20:21], 0, s[14:15]
	global_load_ubyte v6, v[6:7], off
	s_add_u32 s14, s14, 1
	v_mov_b32_e32 v7, s16
	s_addc_u32 s15, s15, 0
	v_cmp_eq_u32_e32 vcc, s14, v0
	s_waitcnt vmcnt(0)
	v_and_b32_e32 v6, 0xffff, v6
	v_lshlrev_b64 v[6:7], s12, v[6:7]
	s_add_u32 s12, s12, 8
	s_addc_u32 s13, s13, 0
	v_or_b32_e32 v19, v7, v19
	s_or_b64 s[10:11], vcc, s[10:11]
	v_or_b32_e32 v18, v6, v18
	s_andn2_b64 exec, exec, s[10:11]
	s_cbranch_execnz .LBB2_30
; %bb.31:                               ;   in Loop: Header=BB2_3 Depth=1
	s_or_b64 exec, exec, s[10:11]
.LBB2_32:                               ;   in Loop: Header=BB2_3 Depth=1
	s_or_b64 exec, exec, s[6:7]
	v_mov_b64_e32 v[6:7], v[20:21]
                                        ; implicit-def: $vgpr0
.LBB2_33:                               ;   in Loop: Header=BB2_3 Depth=1
	s_or_saveexec_b64 s[0:1], s[0:1]
	v_mov_b32_e32 v22, 0
	s_xor_b64 exec, exec, s[0:1]
	s_cbranch_execz .LBB2_35
; %bb.34:                               ;   in Loop: Header=BB2_3 Depth=1
	global_load_dwordx2 v[18:19], v[20:21], off
	v_add_u32_e32 v22, -8, v0
.LBB2_35:                               ;   in Loop: Header=BB2_3 Depth=1
	s_or_b64 exec, exec, s[0:1]
	v_cmp_gt_u32_e32 vcc, 8, v22
	v_lshl_add_u64 v[24:25], v[6:7], 0, 8
	s_and_saveexec_b64 s[0:1], vcc
	s_xor_b64 s[0:1], exec, s[0:1]
	s_cbranch_execz .LBB2_41
; %bb.36:                               ;   in Loop: Header=BB2_3 Depth=1
	v_cmp_ne_u32_e32 vcc, 0, v22
	v_mov_b64_e32 v[20:21], 0
	s_and_saveexec_b64 s[6:7], vcc
	s_cbranch_execz .LBB2_40
; %bb.37:                               ;   in Loop: Header=BB2_3 Depth=1
	s_mov_b64 s[10:11], 0
	v_mov_b64_e32 v[20:21], 0
	s_mov_b64 s[12:13], 0
	s_mov_b64 s[14:15], 0
.LBB2_38:                               ;   Parent Loop BB2_3 Depth=1
                                        ; =>  This Inner Loop Header: Depth=2
	v_lshl_add_u64 v[24:25], v[6:7], 0, s[14:15]
	global_load_ubyte v0, v[24:25], off
	s_add_u32 s14, s14, 1
	v_mov_b32_e32 v25, s16
	s_addc_u32 s15, s15, 0
	v_cmp_eq_u32_e32 vcc, s14, v22
	s_waitcnt vmcnt(0)
	v_and_b32_e32 v24, 0xffff, v0
	v_lshlrev_b64 v[24:25], s12, v[24:25]
	s_add_u32 s12, s12, 8
	s_addc_u32 s13, s13, 0
	v_or_b32_e32 v21, v25, v21
	s_or_b64 s[10:11], vcc, s[10:11]
	v_or_b32_e32 v20, v24, v20
	s_andn2_b64 exec, exec, s[10:11]
	s_cbranch_execnz .LBB2_38
; %bb.39:                               ;   in Loop: Header=BB2_3 Depth=1
	s_or_b64 exec, exec, s[10:11]
.LBB2_40:                               ;   in Loop: Header=BB2_3 Depth=1
	s_or_b64 exec, exec, s[6:7]
	v_mov_b64_e32 v[24:25], v[6:7]
                                        ; implicit-def: $vgpr22
.LBB2_41:                               ;   in Loop: Header=BB2_3 Depth=1
	s_or_saveexec_b64 s[0:1], s[0:1]
	v_mov_b32_e32 v0, 0
	s_xor_b64 exec, exec, s[0:1]
	s_cbranch_execz .LBB2_43
; %bb.42:                               ;   in Loop: Header=BB2_3 Depth=1
	global_load_dwordx2 v[20:21], v[6:7], off
	v_add_u32_e32 v0, -8, v22
.LBB2_43:                               ;   in Loop: Header=BB2_3 Depth=1
	s_or_b64 exec, exec, s[0:1]
	v_cmp_gt_u32_e32 vcc, 8, v0
	v_lshl_add_u64 v[6:7], v[24:25], 0, 8
                                        ; implicit-def: $vgpr22_vgpr23
	s_and_saveexec_b64 s[0:1], vcc
	s_xor_b64 s[0:1], exec, s[0:1]
	s_cbranch_execz .LBB2_49
; %bb.44:                               ;   in Loop: Header=BB2_3 Depth=1
	v_cmp_ne_u32_e32 vcc, 0, v0
	v_mov_b64_e32 v[22:23], 0
	s_and_saveexec_b64 s[6:7], vcc
	s_cbranch_execz .LBB2_48
; %bb.45:                               ;   in Loop: Header=BB2_3 Depth=1
	s_mov_b64 s[10:11], 0
	v_mov_b64_e32 v[22:23], 0
	s_mov_b64 s[12:13], 0
	s_mov_b64 s[14:15], 0
.LBB2_46:                               ;   Parent Loop BB2_3 Depth=1
                                        ; =>  This Inner Loop Header: Depth=2
	v_lshl_add_u64 v[6:7], v[24:25], 0, s[14:15]
	global_load_ubyte v6, v[6:7], off
	s_add_u32 s14, s14, 1
	v_mov_b32_e32 v7, s16
	s_addc_u32 s15, s15, 0
	v_cmp_eq_u32_e32 vcc, s14, v0
	s_waitcnt vmcnt(0)
	v_and_b32_e32 v6, 0xffff, v6
	v_lshlrev_b64 v[6:7], s12, v[6:7]
	s_add_u32 s12, s12, 8
	s_addc_u32 s13, s13, 0
	v_or_b32_e32 v23, v7, v23
	s_or_b64 s[10:11], vcc, s[10:11]
	v_or_b32_e32 v22, v6, v22
	s_andn2_b64 exec, exec, s[10:11]
	s_cbranch_execnz .LBB2_46
; %bb.47:                               ;   in Loop: Header=BB2_3 Depth=1
	s_or_b64 exec, exec, s[10:11]
.LBB2_48:                               ;   in Loop: Header=BB2_3 Depth=1
	s_or_b64 exec, exec, s[6:7]
	v_mov_b64_e32 v[6:7], v[24:25]
                                        ; implicit-def: $vgpr0
.LBB2_49:                               ;   in Loop: Header=BB2_3 Depth=1
	s_or_saveexec_b64 s[0:1], s[0:1]
	v_mov_b32_e32 v26, 0
	s_xor_b64 exec, exec, s[0:1]
	s_cbranch_execz .LBB2_51
; %bb.50:                               ;   in Loop: Header=BB2_3 Depth=1
	global_load_dwordx2 v[22:23], v[24:25], off
	v_add_u32_e32 v26, -8, v0
.LBB2_51:                               ;   in Loop: Header=BB2_3 Depth=1
	s_or_b64 exec, exec, s[0:1]
	v_cmp_gt_u32_e32 vcc, 8, v26
	s_and_saveexec_b64 s[0:1], vcc
	s_xor_b64 s[0:1], exec, s[0:1]
	s_cbranch_execz .LBB2_57
; %bb.52:                               ;   in Loop: Header=BB2_3 Depth=1
	v_cmp_ne_u32_e32 vcc, 0, v26
	v_mov_b64_e32 v[24:25], 0
	s_and_saveexec_b64 s[6:7], vcc
	s_cbranch_execz .LBB2_56
; %bb.53:                               ;   in Loop: Header=BB2_3 Depth=1
	s_mov_b64 s[10:11], 0
	v_mov_b64_e32 v[24:25], 0
	s_mov_b64 s[12:13], 0
.LBB2_54:                               ;   Parent Loop BB2_3 Depth=1
                                        ; =>  This Inner Loop Header: Depth=2
	global_load_ubyte v0, v[6:7], off
	v_mov_b32_e32 v29, s16
	v_add_u32_e32 v26, -1, v26
	v_cmp_eq_u32_e32 vcc, 0, v26
	v_lshl_add_u64 v[6:7], v[6:7], 0, 1
	s_waitcnt vmcnt(0)
	v_and_b32_e32 v28, 0xffff, v0
	v_lshlrev_b64 v[28:29], s12, v[28:29]
	s_add_u32 s12, s12, 8
	s_addc_u32 s13, s13, 0
	v_or_b32_e32 v25, v29, v25
	s_or_b64 s[10:11], vcc, s[10:11]
	v_or_b32_e32 v24, v28, v24
	s_andn2_b64 exec, exec, s[10:11]
	s_cbranch_execnz .LBB2_54
; %bb.55:                               ;   in Loop: Header=BB2_3 Depth=1
	s_or_b64 exec, exec, s[10:11]
.LBB2_56:                               ;   in Loop: Header=BB2_3 Depth=1
	s_or_b64 exec, exec, s[6:7]
                                        ; implicit-def: $vgpr6_vgpr7
.LBB2_57:                               ;   in Loop: Header=BB2_3 Depth=1
	s_andn2_saveexec_b64 s[0:1], s[0:1]
	s_cbranch_execz .LBB2_59
; %bb.58:                               ;   in Loop: Header=BB2_3 Depth=1
	global_load_dwordx2 v[24:25], v[6:7], off
.LBB2_59:                               ;   in Loop: Header=BB2_3 Depth=1
	s_or_b64 exec, exec, s[0:1]
	v_readfirstlane_b32 s0, v32
	v_mov_b64_e32 v[6:7], 0
	s_nop 0
	v_cmp_eq_u32_e64 s[0:1], s0, v32
	s_and_saveexec_b64 s[6:7], s[0:1]
	s_cbranch_execz .LBB2_65
; %bb.60:                               ;   in Loop: Header=BB2_3 Depth=1
	s_waitcnt lgkmcnt(0)
	global_load_dwordx2 v[28:29], v31, s[4:5] offset:24 sc0 sc1
	s_waitcnt vmcnt(0)
	buffer_inv sc0 sc1
	global_load_dwordx2 v[6:7], v31, s[4:5] offset:40
	global_load_dwordx2 v[26:27], v31, s[4:5]
	s_waitcnt vmcnt(1)
	v_and_b32_e32 v0, v6, v28
	v_and_b32_e32 v6, v7, v29
	v_mul_lo_u32 v6, v6, 24
	v_mul_hi_u32 v7, v0, 24
	v_add_u32_e32 v7, v7, v6
	v_mul_lo_u32 v6, v0, 24
	s_waitcnt vmcnt(0)
	v_lshl_add_u64 v[6:7], v[26:27], 0, v[6:7]
	global_load_dwordx2 v[26:27], v[6:7], off sc0 sc1
	s_waitcnt vmcnt(0)
	global_atomic_cmpswap_x2 v[6:7], v31, v[26:29], s[4:5] offset:24 sc0 sc1
	s_waitcnt vmcnt(0)
	buffer_inv sc0 sc1
	v_cmp_ne_u64_e32 vcc, v[6:7], v[28:29]
	s_and_saveexec_b64 s[10:11], vcc
	s_cbranch_execz .LBB2_64
; %bb.61:                               ;   in Loop: Header=BB2_3 Depth=1
	s_mov_b64 s[12:13], 0
.LBB2_62:                               ;   Parent Loop BB2_3 Depth=1
                                        ; =>  This Inner Loop Header: Depth=2
	s_sleep 1
	global_load_dwordx2 v[26:27], v31, s[4:5] offset:40
	global_load_dwordx2 v[38:39], v31, s[4:5]
	v_mov_b64_e32 v[28:29], v[6:7]
	s_waitcnt vmcnt(1)
	v_and_b32_e32 v0, v26, v28
	s_waitcnt vmcnt(0)
	v_mad_u64_u32 v[6:7], s[14:15], v0, 24, v[38:39]
	v_and_b32_e32 v27, v27, v29
	v_mov_b32_e32 v0, v7
	v_mad_u64_u32 v[26:27], s[14:15], v27, 24, v[0:1]
	v_mov_b32_e32 v7, v26
	global_load_dwordx2 v[26:27], v[6:7], off sc0 sc1
	s_waitcnt vmcnt(0)
	global_atomic_cmpswap_x2 v[6:7], v31, v[26:29], s[4:5] offset:24 sc0 sc1
	s_waitcnt vmcnt(0)
	buffer_inv sc0 sc1
	v_cmp_eq_u64_e32 vcc, v[6:7], v[28:29]
	s_or_b64 s[12:13], vcc, s[12:13]
	s_andn2_b64 exec, exec, s[12:13]
	s_cbranch_execnz .LBB2_62
; %bb.63:                               ;   in Loop: Header=BB2_3 Depth=1
	s_or_b64 exec, exec, s[12:13]
.LBB2_64:                               ;   in Loop: Header=BB2_3 Depth=1
	s_or_b64 exec, exec, s[10:11]
.LBB2_65:                               ;   in Loop: Header=BB2_3 Depth=1
	s_or_b64 exec, exec, s[6:7]
	s_waitcnt lgkmcnt(0)
	global_load_dwordx2 v[38:39], v31, s[4:5] offset:40
	global_load_dwordx4 v[26:29], v31, s[4:5]
	v_readfirstlane_b32 s7, v7
	v_readfirstlane_b32 s6, v6
	s_mov_b64 s[10:11], exec
	s_waitcnt vmcnt(1)
	v_readfirstlane_b32 s12, v38
	v_readfirstlane_b32 s13, v39
	s_and_b64 s[12:13], s[12:13], s[6:7]
	s_mul_i32 s14, s13, 24
	s_mul_hi_u32 s15, s12, 24
	s_add_i32 s15, s15, s14
	s_mul_i32 s14, s12, 24
	s_waitcnt vmcnt(0)
	v_lshl_add_u64 v[38:39], v[26:27], 0, s[14:15]
	s_and_saveexec_b64 s[14:15], s[0:1]
	s_cbranch_execz .LBB2_67
; %bb.66:                               ;   in Loop: Header=BB2_3 Depth=1
	v_mov_b64_e32 v[6:7], s[10:11]
	global_store_dwordx4 v[38:39], v[6:9], off offset:8
.LBB2_67:                               ;   in Loop: Header=BB2_3 Depth=1
	s_or_b64 exec, exec, s[14:15]
	v_cmp_gt_u64_e32 vcc, 57, v[4:5]
	s_lshl_b64 s[10:11], s[12:13], 12
	v_and_b32_e32 v10, 0xffffff1f, v10
	v_cndmask_b32_e32 v0, 0, v2, vcc
	v_lshl_add_u64 v[6:7], v[28:29], 0, s[10:11]
	v_lshl_add_u32 v28, v36, 2, 28
	v_or_b32_e32 v0, v10, v0
	v_and_or_b32 v10, v28, s17, v0
	v_lshlrev_b32_e32 v30, 6, v32
	v_readfirstlane_b32 s10, v6
	v_readfirstlane_b32 s11, v7
	s_nop 4
	global_store_dwordx4 v30, v[10:13], s[10:11]
	global_store_dwordx4 v30, v[14:17], s[10:11] offset:16
	global_store_dwordx4 v30, v[18:21], s[10:11] offset:32
	global_store_dwordx4 v30, v[22:25], s[10:11] offset:48
	s_and_saveexec_b64 s[10:11], s[0:1]
	s_cbranch_execz .LBB2_75
; %bb.68:                               ;   in Loop: Header=BB2_3 Depth=1
	global_load_dwordx2 v[18:19], v31, s[4:5] offset:32 sc0 sc1
	global_load_dwordx2 v[10:11], v31, s[4:5] offset:40
	v_mov_b32_e32 v16, s6
	v_mov_b32_e32 v17, s7
	s_waitcnt vmcnt(0)
	v_readfirstlane_b32 s12, v10
	v_readfirstlane_b32 s13, v11
	s_and_b64 s[12:13], s[12:13], s[6:7]
	s_mul_i32 s13, s13, 24
	s_mul_hi_u32 s14, s12, 24
	s_mul_i32 s12, s12, 24
	s_add_i32 s13, s14, s13
	v_lshl_add_u64 v[14:15], v[26:27], 0, s[12:13]
	global_store_dwordx2 v[14:15], v[18:19], off
	buffer_wbl2 sc0 sc1
	s_waitcnt vmcnt(0)
	global_atomic_cmpswap_x2 v[12:13], v31, v[16:19], s[4:5] offset:32 sc0 sc1
	s_waitcnt vmcnt(0)
	v_cmp_ne_u64_e32 vcc, v[12:13], v[18:19]
	s_and_saveexec_b64 s[12:13], vcc
	s_cbranch_execz .LBB2_71
; %bb.69:                               ;   in Loop: Header=BB2_3 Depth=1
	s_mov_b64 s[14:15], 0
.LBB2_70:                               ;   Parent Loop BB2_3 Depth=1
                                        ; =>  This Inner Loop Header: Depth=2
	s_sleep 1
	global_store_dwordx2 v[14:15], v[12:13], off
	v_mov_b32_e32 v10, s6
	v_mov_b32_e32 v11, s7
	buffer_wbl2 sc0 sc1
	s_waitcnt vmcnt(0)
	global_atomic_cmpswap_x2 v[10:11], v31, v[10:13], s[4:5] offset:32 sc0 sc1
	s_waitcnt vmcnt(0)
	v_cmp_eq_u64_e32 vcc, v[10:11], v[12:13]
	s_or_b64 s[14:15], vcc, s[14:15]
	v_mov_b64_e32 v[12:13], v[10:11]
	s_andn2_b64 exec, exec, s[14:15]
	s_cbranch_execnz .LBB2_70
.LBB2_71:                               ;   in Loop: Header=BB2_3 Depth=1
	s_or_b64 exec, exec, s[12:13]
	global_load_dwordx2 v[10:11], v31, s[4:5] offset:16
	s_mov_b64 s[14:15], exec
	v_mbcnt_lo_u32_b32 v0, s14, 0
	v_mbcnt_hi_u32_b32 v0, s15, v0
	v_cmp_eq_u32_e32 vcc, 0, v0
	s_and_saveexec_b64 s[12:13], vcc
	s_cbranch_execz .LBB2_73
; %bb.72:                               ;   in Loop: Header=BB2_3 Depth=1
	s_bcnt1_i32_b64 s14, s[14:15]
	v_mov_b32_e32 v12, s14
	v_mov_b32_e32 v13, v31
	buffer_wbl2 sc0 sc1
	s_waitcnt vmcnt(0)
	global_atomic_add_x2 v[10:11], v[12:13], off offset:8 sc1
.LBB2_73:                               ;   in Loop: Header=BB2_3 Depth=1
	s_or_b64 exec, exec, s[12:13]
	s_waitcnt vmcnt(0)
	global_load_dwordx2 v[12:13], v[10:11], off offset:16
	s_waitcnt vmcnt(0)
	v_cmp_eq_u64_e32 vcc, 0, v[12:13]
	s_cbranch_vccnz .LBB2_75
; %bb.74:                               ;   in Loop: Header=BB2_3 Depth=1
	global_load_dword v10, v[10:11], off offset:24
	v_mov_b32_e32 v11, v31
	s_waitcnt vmcnt(0)
	v_readfirstlane_b32 s12, v10
	s_and_b32 m0, s12, 0xffffff
	buffer_wbl2 sc0 sc1
	global_store_dwordx2 v[12:13], v[10:11], off sc0 sc1
	s_sendmsg sendmsg(MSG_INTERRUPT)
.LBB2_75:                               ;   in Loop: Header=BB2_3 Depth=1
	s_or_b64 exec, exec, s[10:11]
	v_lshl_add_u64 v[6:7], v[6:7], 0, v[30:31]
	s_branch .LBB2_79
.LBB2_76:                               ;   in Loop: Header=BB2_79 Depth=2
	s_or_b64 exec, exec, s[10:11]
	v_readfirstlane_b32 s10, v0
	s_cmp_eq_u32 s10, 0
	s_cbranch_scc1 .LBB2_78
; %bb.77:                               ;   in Loop: Header=BB2_79 Depth=2
	s_sleep 1
	s_cbranch_execnz .LBB2_79
	s_branch .LBB2_81
.LBB2_78:                               ;   in Loop: Header=BB2_3 Depth=1
	s_branch .LBB2_81
.LBB2_79:                               ;   Parent Loop BB2_3 Depth=1
                                        ; =>  This Inner Loop Header: Depth=2
	v_mov_b32_e32 v0, 1
	s_and_saveexec_b64 s[10:11], s[0:1]
	s_cbranch_execz .LBB2_76
; %bb.80:                               ;   in Loop: Header=BB2_79 Depth=2
	global_load_dword v0, v[38:39], off offset:20 sc0 sc1
	s_waitcnt vmcnt(0)
	buffer_inv sc0 sc1
	v_and_b32_e32 v0, 1, v0
	s_branch .LBB2_76
.LBB2_81:                               ;   in Loop: Header=BB2_3 Depth=1
	global_load_dwordx4 v[10:13], v[6:7], off
	s_and_saveexec_b64 s[10:11], s[0:1]
	s_cbranch_execz .LBB2_2
; %bb.82:                               ;   in Loop: Header=BB2_3 Depth=1
	global_load_dwordx2 v[6:7], v31, s[4:5] offset:40
	global_load_dwordx2 v[16:17], v31, s[4:5] offset:24 sc0 sc1
	global_load_dwordx2 v[12:13], v31, s[4:5]
	s_waitcnt vmcnt(2)
	v_readfirstlane_b32 s12, v6
	v_readfirstlane_b32 s13, v7
	s_add_u32 s14, s12, 1
	s_addc_u32 s15, s13, 0
	s_add_u32 s0, s14, s6
	s_addc_u32 s1, s15, s7
	s_cmp_eq_u64 s[0:1], 0
	s_cselect_b32 s1, s15, s1
	s_cselect_b32 s0, s14, s0
	s_and_b64 s[6:7], s[0:1], s[12:13]
	s_mul_i32 s7, s7, 24
	s_mul_hi_u32 s12, s6, 24
	s_mul_i32 s6, s6, 24
	s_add_i32 s7, s12, s7
	s_waitcnt vmcnt(0)
	v_lshl_add_u64 v[6:7], v[12:13], 0, s[6:7]
	v_mov_b32_e32 v14, s0
	global_store_dwordx2 v[6:7], v[16:17], off
	v_mov_b32_e32 v15, s1
	buffer_wbl2 sc0 sc1
	s_waitcnt vmcnt(0)
	global_atomic_cmpswap_x2 v[14:15], v31, v[14:17], s[4:5] offset:24 sc0 sc1
	s_waitcnt vmcnt(0)
	v_cmp_ne_u64_e32 vcc, v[14:15], v[16:17]
	s_and_b64 exec, exec, vcc
	s_cbranch_execz .LBB2_2
; %bb.83:                               ;   in Loop: Header=BB2_3 Depth=1
	s_mov_b64 s[6:7], 0
.LBB2_84:                               ;   Parent Loop BB2_3 Depth=1
                                        ; =>  This Inner Loop Header: Depth=2
	s_sleep 1
	global_store_dwordx2 v[6:7], v[14:15], off
	v_mov_b32_e32 v12, s0
	v_mov_b32_e32 v13, s1
	buffer_wbl2 sc0 sc1
	s_waitcnt vmcnt(0)
	global_atomic_cmpswap_x2 v[12:13], v31, v[12:15], s[4:5] offset:24 sc0 sc1
	s_waitcnt vmcnt(0)
	v_cmp_eq_u64_e32 vcc, v[12:13], v[14:15]
	s_or_b64 s[6:7], vcc, s[6:7]
	v_mov_b64_e32 v[14:15], v[12:13]
	s_andn2_b64 exec, exec, s[6:7]
	s_cbranch_execnz .LBB2_84
	s_branch .LBB2_2
.LBB2_85:
	s_or_b64 exec, exec, s[2:3]
	s_branch .LBB2_113
.LBB2_86:
	s_load_dwordx2 s[2:3], s[8:9], 0x50
	s_waitcnt vmcnt(0)
	v_mbcnt_hi_u32_b32 v10, -1, v33
	v_mov_b64_e32 v[8:9], 0
	v_readfirstlane_b32 s0, v10
	s_nop 1
	v_cmp_eq_u32_e64 s[0:1], s0, v10
	s_and_saveexec_b64 s[4:5], s[0:1]
	s_cbranch_execz .LBB2_92
; %bb.87:
	v_mov_b32_e32 v0, 0
	s_waitcnt lgkmcnt(0)
	global_load_dwordx2 v[6:7], v0, s[2:3] offset:24 sc0 sc1
	s_waitcnt vmcnt(0)
	buffer_inv sc0 sc1
	global_load_dwordx2 v[4:5], v0, s[2:3] offset:40
	global_load_dwordx2 v[8:9], v0, s[2:3]
	s_waitcnt vmcnt(1)
	v_and_b32_e32 v2, v4, v6
	v_and_b32_e32 v4, v5, v7
	v_mul_lo_u32 v4, v4, 24
	v_mul_hi_u32 v5, v2, 24
	v_add_u32_e32 v5, v5, v4
	v_mul_lo_u32 v4, v2, 24
	s_waitcnt vmcnt(0)
	v_lshl_add_u64 v[4:5], v[8:9], 0, v[4:5]
	global_load_dwordx2 v[4:5], v[4:5], off sc0 sc1
	s_waitcnt vmcnt(0)
	global_atomic_cmpswap_x2 v[8:9], v0, v[4:7], s[2:3] offset:24 sc0 sc1
	s_waitcnt vmcnt(0)
	buffer_inv sc0 sc1
	v_cmp_ne_u64_e32 vcc, v[8:9], v[6:7]
	s_and_saveexec_b64 s[6:7], vcc
	s_cbranch_execz .LBB2_91
; %bb.88:
	s_mov_b64 s[8:9], 0
.LBB2_89:                               ; =>This Inner Loop Header: Depth=1
	s_sleep 1
	global_load_dwordx2 v[4:5], v0, s[2:3] offset:40
	global_load_dwordx2 v[12:13], v0, s[2:3]
	v_mov_b64_e32 v[6:7], v[8:9]
	s_waitcnt vmcnt(1)
	v_and_b32_e32 v2, v4, v6
	v_and_b32_e32 v8, v5, v7
	s_waitcnt vmcnt(0)
	v_mad_u64_u32 v[4:5], s[10:11], v2, 24, v[12:13]
	v_mov_b32_e32 v2, v5
	v_mad_u64_u32 v[8:9], s[10:11], v8, 24, v[2:3]
	v_mov_b32_e32 v5, v8
	global_load_dwordx2 v[4:5], v[4:5], off sc0 sc1
	s_waitcnt vmcnt(0)
	global_atomic_cmpswap_x2 v[8:9], v0, v[4:7], s[2:3] offset:24 sc0 sc1
	s_waitcnt vmcnt(0)
	buffer_inv sc0 sc1
	v_cmp_eq_u64_e32 vcc, v[8:9], v[6:7]
	s_or_b64 s[8:9], vcc, s[8:9]
	s_andn2_b64 exec, exec, s[8:9]
	s_cbranch_execnz .LBB2_89
; %bb.90:
	s_or_b64 exec, exec, s[8:9]
.LBB2_91:
	s_or_b64 exec, exec, s[6:7]
.LBB2_92:
	s_or_b64 exec, exec, s[4:5]
	v_mov_b32_e32 v2, 0
	s_waitcnt lgkmcnt(0)
	global_load_dwordx2 v[12:13], v2, s[2:3] offset:40
	global_load_dwordx4 v[4:7], v2, s[2:3]
	v_readfirstlane_b32 s5, v9
	v_readfirstlane_b32 s4, v8
	s_mov_b64 s[6:7], exec
	s_waitcnt vmcnt(1)
	v_readfirstlane_b32 s8, v12
	v_readfirstlane_b32 s9, v13
	s_and_b64 s[8:9], s[8:9], s[4:5]
	s_mul_i32 s10, s9, 24
	s_mul_hi_u32 s11, s8, 24
	s_add_i32 s11, s11, s10
	s_mul_i32 s10, s8, 24
	s_waitcnt vmcnt(0)
	v_lshl_add_u64 v[8:9], v[4:5], 0, s[10:11]
	s_and_saveexec_b64 s[10:11], s[0:1]
	s_cbranch_execz .LBB2_94
; %bb.93:
	v_mov_b64_e32 v[12:13], s[6:7]
	v_mov_b32_e32 v14, 2
	v_mov_b32_e32 v15, 1
	global_store_dwordx4 v[8:9], v[12:15], off offset:8
.LBB2_94:
	s_or_b64 exec, exec, s[10:11]
	s_lshl_b64 s[6:7], s[8:9], 12
	v_lshl_add_u64 v[6:7], v[6:7], 0, s[6:7]
	s_movk_i32 s6, 0xff1f
	s_mov_b32 s8, 0
	v_and_or_b32 v0, v3, s6, 32
	v_lshlrev_b32_e32 v10, 6, v10
	v_mov_b32_e32 v3, v2
	v_readfirstlane_b32 s6, v6
	v_readfirstlane_b32 s7, v7
	s_mov_b32 s9, s8
	s_mov_b32 s10, s8
	;; [unrolled: 1-line block ×3, first 2 shown]
	s_nop 1
	global_store_dwordx4 v10, v[0:3], s[6:7]
	s_nop 1
	v_mov_b64_e32 v[0:1], s[8:9]
	v_mov_b64_e32 v[2:3], s[10:11]
	global_store_dwordx4 v10, v[0:3], s[6:7] offset:16
	global_store_dwordx4 v10, v[0:3], s[6:7] offset:32
	;; [unrolled: 1-line block ×3, first 2 shown]
	s_and_saveexec_b64 s[6:7], s[0:1]
	s_cbranch_execz .LBB2_102
; %bb.95:
	v_mov_b32_e32 v6, 0
	global_load_dwordx2 v[12:13], v6, s[2:3] offset:32 sc0 sc1
	global_load_dwordx2 v[0:1], v6, s[2:3] offset:40
	v_mov_b32_e32 v10, s4
	v_mov_b32_e32 v11, s5
	s_waitcnt vmcnt(0)
	v_and_b32_e32 v0, s4, v0
	v_and_b32_e32 v1, s5, v1
	v_mul_lo_u32 v1, v1, 24
	v_mul_hi_u32 v2, v0, 24
	v_mul_lo_u32 v0, v0, 24
	v_add_u32_e32 v1, v2, v1
	v_lshl_add_u64 v[4:5], v[4:5], 0, v[0:1]
	global_store_dwordx2 v[4:5], v[12:13], off
	buffer_wbl2 sc0 sc1
	s_waitcnt vmcnt(0)
	global_atomic_cmpswap_x2 v[2:3], v6, v[10:13], s[2:3] offset:32 sc0 sc1
	s_waitcnt vmcnt(0)
	v_cmp_ne_u64_e32 vcc, v[2:3], v[12:13]
	s_and_saveexec_b64 s[8:9], vcc
	s_cbranch_execz .LBB2_98
; %bb.96:
	s_mov_b64 s[10:11], 0
.LBB2_97:                               ; =>This Inner Loop Header: Depth=1
	s_sleep 1
	global_store_dwordx2 v[4:5], v[2:3], off
	v_mov_b32_e32 v0, s4
	v_mov_b32_e32 v1, s5
	buffer_wbl2 sc0 sc1
	s_waitcnt vmcnt(0)
	global_atomic_cmpswap_x2 v[0:1], v6, v[0:3], s[2:3] offset:32 sc0 sc1
	s_waitcnt vmcnt(0)
	v_cmp_eq_u64_e32 vcc, v[0:1], v[2:3]
	s_or_b64 s[10:11], vcc, s[10:11]
	v_mov_b64_e32 v[2:3], v[0:1]
	s_andn2_b64 exec, exec, s[10:11]
	s_cbranch_execnz .LBB2_97
.LBB2_98:
	s_or_b64 exec, exec, s[8:9]
	v_mov_b32_e32 v3, 0
	global_load_dwordx2 v[0:1], v3, s[2:3] offset:16
	s_mov_b64 s[8:9], exec
	v_mbcnt_lo_u32_b32 v2, s8, 0
	v_mbcnt_hi_u32_b32 v2, s9, v2
	v_cmp_eq_u32_e32 vcc, 0, v2
	s_and_saveexec_b64 s[10:11], vcc
	s_cbranch_execz .LBB2_100
; %bb.99:
	s_bcnt1_i32_b64 s8, s[8:9]
	v_mov_b32_e32 v2, s8
	buffer_wbl2 sc0 sc1
	s_waitcnt vmcnt(0)
	global_atomic_add_x2 v[0:1], v[2:3], off offset:8 sc1
.LBB2_100:
	s_or_b64 exec, exec, s[10:11]
	s_waitcnt vmcnt(0)
	global_load_dwordx2 v[2:3], v[0:1], off offset:16
	s_waitcnt vmcnt(0)
	v_cmp_eq_u64_e32 vcc, 0, v[2:3]
	s_cbranch_vccnz .LBB2_102
; %bb.101:
	global_load_dword v0, v[0:1], off offset:24
	v_mov_b32_e32 v1, 0
	s_waitcnt vmcnt(0)
	v_readfirstlane_b32 s8, v0
	s_and_b32 m0, s8, 0xffffff
	buffer_wbl2 sc0 sc1
	global_store_dwordx2 v[2:3], v[0:1], off sc0 sc1
	s_sendmsg sendmsg(MSG_INTERRUPT)
.LBB2_102:
	s_or_b64 exec, exec, s[6:7]
	s_branch .LBB2_106
.LBB2_103:                              ;   in Loop: Header=BB2_106 Depth=1
	s_or_b64 exec, exec, s[6:7]
	v_readfirstlane_b32 s6, v0
	s_cmp_eq_u32 s6, 0
	s_cbranch_scc1 .LBB2_105
; %bb.104:                              ;   in Loop: Header=BB2_106 Depth=1
	s_sleep 1
	s_cbranch_execnz .LBB2_106
	s_branch .LBB2_108
.LBB2_105:
	s_branch .LBB2_108
.LBB2_106:                              ; =>This Inner Loop Header: Depth=1
	v_mov_b32_e32 v0, 1
	s_and_saveexec_b64 s[6:7], s[0:1]
	s_cbranch_execz .LBB2_103
; %bb.107:                              ;   in Loop: Header=BB2_106 Depth=1
	global_load_dword v0, v[8:9], off offset:20 sc0 sc1
	s_waitcnt vmcnt(0)
	buffer_inv sc0 sc1
	v_and_b32_e32 v0, 1, v0
	s_branch .LBB2_103
.LBB2_108:
	s_and_saveexec_b64 s[6:7], s[0:1]
	s_cbranch_execz .LBB2_111
; %bb.109:
	v_mov_b32_e32 v6, 0
	global_load_dwordx2 v[0:1], v6, s[2:3] offset:40
	global_load_dwordx2 v[10:11], v6, s[2:3] offset:24 sc0 sc1
	global_load_dwordx2 v[2:3], v6, s[2:3]
	s_waitcnt vmcnt(2)
	v_readfirstlane_b32 s8, v0
	v_readfirstlane_b32 s9, v1
	s_add_u32 s10, s8, 1
	s_addc_u32 s11, s9, 0
	s_add_u32 s0, s10, s4
	s_addc_u32 s1, s11, s5
	s_cmp_eq_u64 s[0:1], 0
	s_cselect_b32 s1, s11, s1
	s_cselect_b32 s0, s10, s0
	s_and_b64 s[4:5], s[0:1], s[8:9]
	s_mul_i32 s5, s5, 24
	s_mul_hi_u32 s8, s4, 24
	s_mul_i32 s4, s4, 24
	s_add_i32 s5, s8, s5
	s_waitcnt vmcnt(0)
	v_lshl_add_u64 v[4:5], v[2:3], 0, s[4:5]
	v_mov_b32_e32 v8, s0
	global_store_dwordx2 v[4:5], v[10:11], off
	v_mov_b32_e32 v9, s1
	buffer_wbl2 sc0 sc1
	s_waitcnt vmcnt(0)
	global_atomic_cmpswap_x2 v[2:3], v6, v[8:11], s[2:3] offset:24 sc0 sc1
	s_mov_b64 s[4:5], 0
	s_waitcnt vmcnt(0)
	v_cmp_ne_u64_e32 vcc, v[2:3], v[10:11]
	s_and_b64 exec, exec, vcc
	s_cbranch_execz .LBB2_111
.LBB2_110:                              ; =>This Inner Loop Header: Depth=1
	s_sleep 1
	global_store_dwordx2 v[4:5], v[2:3], off
	v_mov_b32_e32 v0, s0
	v_mov_b32_e32 v1, s1
	buffer_wbl2 sc0 sc1
	s_waitcnt vmcnt(0)
	global_atomic_cmpswap_x2 v[0:1], v6, v[0:3], s[2:3] offset:24 sc0 sc1
	s_waitcnt vmcnt(0)
	v_cmp_eq_u64_e32 vcc, v[0:1], v[2:3]
	s_or_b64 s[4:5], vcc, s[4:5]
	v_mov_b64_e32 v[2:3], v[0:1]
	s_andn2_b64 exec, exec, s[4:5]
	s_cbranch_execnz .LBB2_110
.LBB2_111:
	s_or_b64 exec, exec, s[6:7]
	s_waitcnt vmcnt(0) lgkmcnt(0)
	s_setpc_b64 s[30:31]
.LBB2_112:
	s_cbranch_execnz .LBB2_86
.LBB2_113:
	s_waitcnt vmcnt(0) lgkmcnt(0)
	s_setpc_b64 s[30:31]
.Lfunc_end2:
	.size	__ockl_fprintf_append_string_n, .Lfunc_end2-__ockl_fprintf_append_string_n
                                        ; -- End function
	.set .L__ockl_fprintf_append_string_n.num_vgpr, 40
	.set .L__ockl_fprintf_append_string_n.num_agpr, 0
	.set .L__ockl_fprintf_append_string_n.numbered_sgpr, 32
	.set .L__ockl_fprintf_append_string_n.num_named_barrier, 0
	.set .L__ockl_fprintf_append_string_n.private_seg_size, 0
	.set .L__ockl_fprintf_append_string_n.uses_vcc, 1
	.set .L__ockl_fprintf_append_string_n.uses_flat_scratch, 0
	.set .L__ockl_fprintf_append_string_n.has_dyn_sized_stack, 0
	.set .L__ockl_fprintf_append_string_n.has_recursion, 0
	.set .L__ockl_fprintf_append_string_n.has_indirect_call, 0
	.section	.AMDGPU.csdata,"",@progbits
; Function info:
; codeLenInByte = 3788
; TotalNumSgprs: 38
; NumVgprs: 40
; NumAgprs: 0
; TotalNumVgprs: 40
; ScratchSize: 0
; MemoryBound: 0
	.text
	.p2align	2                               ; -- Begin function __assert_fail
	.type	__assert_fail,@function
__assert_fail:                          ; @__assert_fail
; %bb.0:
	s_waitcnt vmcnt(0) expcnt(0) lgkmcnt(0)
	s_mov_b32 s20, s33
	s_mov_b32 s33, s32
	s_or_saveexec_b64 s[0:1], -1
	scratch_store_dword off, v40, s33 offset:48 ; 4-byte Folded Spill
	s_mov_b64 exec, s[0:1]
	v_writelane_b32 v40, s30, 0
	s_add_i32 s32, s32, 64
	s_nop 0
	v_writelane_b32 v40, s31, 1
	v_mov_b32_e32 v8, 0
	s_getpc_b64 s[0:1]
	s_add_u32 s0, s0, __const.__assert_fail.fmt@rel32@lo+35
	s_addc_u32 s1, s1, __const.__assert_fail.fmt@rel32@hi+43
	v_mov_b32_e32 v5, v1
	v_mov_b32_e32 v4, v0
	global_load_dwordx4 v[0:3], v8, s[0:1]
	s_getpc_b64 s[0:1]
	s_add_u32 s0, s0, __const.__assert_fail.fmt@rel32@lo+4
	s_addc_u32 s1, s1, __const.__assert_fail.fmt@rel32@hi+12
	s_getpc_b64 s[10:11]
	s_add_u32 s10, s10, __const.__assert_fail.fmt@rel32@lo+20
	s_addc_u32 s11, s11, __const.__assert_fail.fmt@rel32@hi+28
	s_load_dwordx4 s[4:7], s[0:1], 0x0
	s_load_dwordx4 s[12:15], s[10:11], 0x0
	s_load_dwordx2 s[2:3], s[8:9], 0x50
	v_mbcnt_lo_u32_b32 v6, -1, 0
	v_mbcnt_hi_u32_b32 v38, -1, v6
	s_waitcnt lgkmcnt(0)
	v_mov_b64_e32 v[12:13], s[6:7]
	v_readfirstlane_b32 s0, v38
	v_mov_b64_e32 v[10:11], s[4:5]
	v_mov_b64_e32 v[16:17], s[14:15]
	v_cmp_eq_u32_e64 s[0:1], s0, v38
	v_mov_b64_e32 v[6:7], 0
	v_mov_b64_e32 v[14:15], s[12:13]
	scratch_store_dwordx4 off, v[10:13], s33
	scratch_store_dwordx4 off, v[14:17], s33 offset:16
	s_waitcnt vmcnt(2)
	scratch_store_dwordx4 off, v[0:3], s33 offset:31
	s_and_saveexec_b64 s[4:5], s[0:1]
	s_cbranch_execz .LBB3_6
; %bb.1:
	global_load_dwordx2 v[2:3], v8, s[2:3] offset:24 sc0 sc1
	s_waitcnt vmcnt(0)
	buffer_inv sc0 sc1
	global_load_dwordx2 v[0:1], v8, s[2:3] offset:40
	global_load_dwordx2 v[6:7], v8, s[2:3]
	s_waitcnt vmcnt(1)
	v_and_b32_e32 v0, v0, v2
	v_and_b32_e32 v1, v1, v3
	v_mul_lo_u32 v1, v1, 24
	v_mul_hi_u32 v9, v0, 24
	v_add_u32_e32 v1, v9, v1
	v_mul_lo_u32 v0, v0, 24
	s_waitcnt vmcnt(0)
	v_lshl_add_u64 v[0:1], v[6:7], 0, v[0:1]
	global_load_dwordx2 v[0:1], v[0:1], off sc0 sc1
	s_waitcnt vmcnt(0)
	global_atomic_cmpswap_x2 v[6:7], v8, v[0:3], s[2:3] offset:24 sc0 sc1
	s_waitcnt vmcnt(0)
	buffer_inv sc0 sc1
	v_cmp_ne_u64_e32 vcc, v[6:7], v[2:3]
	s_and_saveexec_b64 s[6:7], vcc
	s_cbranch_execz .LBB3_5
; %bb.2:
	s_mov_b64 s[10:11], 0
	v_mov_b32_e32 v0, 0
.LBB3_3:                                ; =>This Inner Loop Header: Depth=1
	s_sleep 1
	global_load_dwordx2 v[2:3], v0, s[2:3] offset:40
	global_load_dwordx2 v[10:11], v0, s[2:3]
	v_mov_b64_e32 v[12:13], v[6:7]
	s_waitcnt vmcnt(1)
	v_and_b32_e32 v2, v2, v12
	v_and_b32_e32 v1, v3, v13
	s_waitcnt vmcnt(0)
	v_mad_u64_u32 v[2:3], s[12:13], v2, 24, v[10:11]
	v_mov_b32_e32 v6, v3
	v_mad_u64_u32 v[6:7], s[12:13], v1, 24, v[6:7]
	v_mov_b32_e32 v3, v6
	global_load_dwordx2 v[10:11], v[2:3], off sc0 sc1
	s_waitcnt vmcnt(0)
	global_atomic_cmpswap_x2 v[6:7], v0, v[10:13], s[2:3] offset:24 sc0 sc1
	s_waitcnt vmcnt(0)
	buffer_inv sc0 sc1
	v_cmp_eq_u64_e32 vcc, v[6:7], v[12:13]
	s_or_b64 s[10:11], vcc, s[10:11]
	s_andn2_b64 exec, exec, s[10:11]
	s_cbranch_execnz .LBB3_3
; %bb.4:
	s_or_b64 exec, exec, s[10:11]
.LBB3_5:
	s_or_b64 exec, exec, s[6:7]
.LBB3_6:
	s_or_b64 exec, exec, s[4:5]
	global_load_dwordx2 v[10:11], v8, s[2:3] offset:40
	global_load_dwordx4 v[0:3], v8, s[2:3]
	v_readfirstlane_b32 s5, v7
	v_readfirstlane_b32 s4, v6
	s_mov_b64 s[6:7], exec
	s_waitcnt vmcnt(1)
	v_readfirstlane_b32 s10, v10
	v_readfirstlane_b32 s11, v11
	s_and_b64 s[10:11], s[10:11], s[4:5]
	s_mul_i32 s12, s11, 24
	s_mul_hi_u32 s13, s10, 24
	s_add_i32 s13, s13, s12
	s_mul_i32 s12, s10, 24
	s_waitcnt vmcnt(0)
	v_lshl_add_u64 v[6:7], v[0:1], 0, s[12:13]
	s_and_saveexec_b64 s[12:13], s[0:1]
	s_cbranch_execz .LBB3_8
; %bb.7:
	v_mov_b64_e32 v[8:9], s[6:7]
	v_mov_b32_e32 v10, 2
	v_mov_b32_e32 v11, 1
	global_store_dwordx4 v[6:7], v[8:11], off offset:8
.LBB3_8:
	s_or_b64 exec, exec, s[12:13]
	s_lshl_b64 s[6:7], s[10:11], 12
	v_lshl_add_u64 v[8:9], v[2:3], 0, s[6:7]
	v_mov_b32_e32 v31, 0
	s_mov_b32 s12, 0
	v_lshlrev_b32_e32 v30, 6, v38
	v_mov_b32_e32 v10, 33
	v_mov_b32_e32 v12, 1
	;; [unrolled: 1-line block ×4, first 2 shown]
	v_readfirstlane_b32 s6, v8
	v_readfirstlane_b32 s7, v9
	s_mov_b32 s13, s12
	s_mov_b32 s14, s12
	;; [unrolled: 1-line block ×3, first 2 shown]
	s_nop 1
	global_store_dwordx4 v30, v[10:13], s[6:7]
	s_nop 1
	v_mov_b64_e32 v[10:11], s[12:13]
	v_mov_b64_e32 v[12:13], s[14:15]
	global_store_dwordx4 v30, v[10:13], s[6:7] offset:16
	global_store_dwordx4 v30, v[10:13], s[6:7] offset:32
	;; [unrolled: 1-line block ×3, first 2 shown]
	s_and_saveexec_b64 s[6:7], s[0:1]
	s_cbranch_execz .LBB3_16
; %bb.9:
	global_load_dwordx2 v[14:15], v31, s[2:3] offset:32 sc0 sc1
	global_load_dwordx2 v[2:3], v31, s[2:3] offset:40
	v_mov_b32_e32 v12, s4
	v_mov_b32_e32 v13, s5
	s_waitcnt vmcnt(0)
	v_and_b32_e32 v2, s4, v2
	v_and_b32_e32 v3, s5, v3
	v_mul_lo_u32 v3, v3, 24
	v_mul_hi_u32 v10, v2, 24
	v_mul_lo_u32 v2, v2, 24
	v_add_u32_e32 v3, v10, v3
	v_lshl_add_u64 v[10:11], v[0:1], 0, v[2:3]
	global_store_dwordx2 v[10:11], v[14:15], off
	buffer_wbl2 sc0 sc1
	s_waitcnt vmcnt(0)
	global_atomic_cmpswap_x2 v[2:3], v31, v[12:15], s[2:3] offset:32 sc0 sc1
	s_waitcnt vmcnt(0)
	v_cmp_ne_u64_e32 vcc, v[2:3], v[14:15]
	s_and_saveexec_b64 s[10:11], vcc
	s_cbranch_execz .LBB3_12
; %bb.10:
	s_mov_b64 s[12:13], 0
	v_mov_b32_e32 v12, 0
.LBB3_11:                               ; =>This Inner Loop Header: Depth=1
	s_sleep 1
	global_store_dwordx2 v[10:11], v[2:3], off
	v_mov_b32_e32 v0, s4
	v_mov_b32_e32 v1, s5
	buffer_wbl2 sc0 sc1
	s_waitcnt vmcnt(0)
	global_atomic_cmpswap_x2 v[0:1], v12, v[0:3], s[2:3] offset:32 sc0 sc1
	s_waitcnt vmcnt(0)
	v_cmp_eq_u64_e32 vcc, v[0:1], v[2:3]
	s_or_b64 s[12:13], vcc, s[12:13]
	v_mov_b64_e32 v[2:3], v[0:1]
	s_andn2_b64 exec, exec, s[12:13]
	s_cbranch_execnz .LBB3_11
.LBB3_12:
	s_or_b64 exec, exec, s[10:11]
	v_mov_b32_e32 v3, 0
	global_load_dwordx2 v[0:1], v3, s[2:3] offset:16
	s_mov_b64 s[10:11], exec
	v_mbcnt_lo_u32_b32 v2, s10, 0
	v_mbcnt_hi_u32_b32 v2, s11, v2
	v_cmp_eq_u32_e32 vcc, 0, v2
	s_and_saveexec_b64 s[12:13], vcc
	s_cbranch_execz .LBB3_14
; %bb.13:
	s_bcnt1_i32_b64 s10, s[10:11]
	v_mov_b32_e32 v2, s10
	buffer_wbl2 sc0 sc1
	s_waitcnt vmcnt(0)
	global_atomic_add_x2 v[0:1], v[2:3], off offset:8 sc1
.LBB3_14:
	s_or_b64 exec, exec, s[12:13]
	s_waitcnt vmcnt(0)
	global_load_dwordx2 v[2:3], v[0:1], off offset:16
	s_waitcnt vmcnt(0)
	v_cmp_eq_u64_e32 vcc, 0, v[2:3]
	s_cbranch_vccnz .LBB3_16
; %bb.15:
	global_load_dword v0, v[0:1], off offset:24
	v_mov_b32_e32 v1, 0
	s_waitcnt vmcnt(0)
	v_readfirstlane_b32 s10, v0
	s_and_b32 m0, s10, 0xffffff
	buffer_wbl2 sc0 sc1
	global_store_dwordx2 v[2:3], v[0:1], off sc0 sc1
	s_sendmsg sendmsg(MSG_INTERRUPT)
.LBB3_16:
	s_or_b64 exec, exec, s[6:7]
	v_lshl_add_u64 v[0:1], v[8:9], 0, v[30:31]
	s_branch .LBB3_20
.LBB3_17:                               ;   in Loop: Header=BB3_20 Depth=1
	s_or_b64 exec, exec, s[6:7]
	v_readfirstlane_b32 s6, v2
	s_cmp_eq_u32 s6, 0
	s_cbranch_scc1 .LBB3_19
; %bb.18:                               ;   in Loop: Header=BB3_20 Depth=1
	s_sleep 1
	s_cbranch_execnz .LBB3_20
	s_branch .LBB3_22
.LBB3_19:
	s_branch .LBB3_22
.LBB3_20:                               ; =>This Inner Loop Header: Depth=1
	v_mov_b32_e32 v2, 1
	s_and_saveexec_b64 s[6:7], s[0:1]
	s_cbranch_execz .LBB3_17
; %bb.21:                               ;   in Loop: Header=BB3_20 Depth=1
	global_load_dword v2, v[6:7], off offset:20 sc0 sc1
	s_waitcnt vmcnt(0)
	buffer_inv sc0 sc1
	v_and_b32_e32 v2, 1, v2
	s_branch .LBB3_17
.LBB3_22:
	global_load_dwordx2 v[6:7], v[0:1], off
	s_and_saveexec_b64 s[6:7], s[0:1]
	s_cbranch_execz .LBB3_25
; %bb.23:
	v_mov_b32_e32 v10, 0
	global_load_dwordx2 v[0:1], v10, s[2:3] offset:40
	global_load_dwordx2 v[14:15], v10, s[2:3] offset:24 sc0 sc1
	global_load_dwordx2 v[2:3], v10, s[2:3]
	s_waitcnt vmcnt(2)
	v_readfirstlane_b32 s10, v0
	v_readfirstlane_b32 s11, v1
	s_add_u32 s12, s10, 1
	s_addc_u32 s13, s11, 0
	s_add_u32 s0, s12, s4
	s_addc_u32 s1, s13, s5
	s_cmp_eq_u64 s[0:1], 0
	s_cselect_b32 s1, s13, s1
	s_cselect_b32 s0, s12, s0
	s_and_b64 s[4:5], s[0:1], s[10:11]
	s_mul_i32 s5, s5, 24
	s_mul_hi_u32 s10, s4, 24
	s_mul_i32 s4, s4, 24
	s_add_i32 s5, s10, s5
	s_waitcnt vmcnt(0)
	v_lshl_add_u64 v[8:9], v[2:3], 0, s[4:5]
	v_mov_b32_e32 v12, s0
	global_store_dwordx2 v[8:9], v[14:15], off
	v_mov_b32_e32 v13, s1
	buffer_wbl2 sc0 sc1
	s_waitcnt vmcnt(0)
	global_atomic_cmpswap_x2 v[2:3], v10, v[12:15], s[2:3] offset:24 sc0 sc1
	s_mov_b64 s[4:5], 0
	s_waitcnt vmcnt(0)
	v_cmp_ne_u64_e32 vcc, v[2:3], v[14:15]
	s_and_b64 exec, exec, vcc
	s_cbranch_execz .LBB3_25
.LBB3_24:                               ; =>This Inner Loop Header: Depth=1
	s_sleep 1
	global_store_dwordx2 v[8:9], v[2:3], off
	v_mov_b32_e32 v0, s0
	v_mov_b32_e32 v1, s1
	buffer_wbl2 sc0 sc1
	s_waitcnt vmcnt(0)
	global_atomic_cmpswap_x2 v[0:1], v10, v[0:3], s[2:3] offset:24 sc0 sc1
	s_waitcnt vmcnt(0)
	v_cmp_eq_u64_e32 vcc, v[0:1], v[2:3]
	s_or_b64 s[4:5], vcc, s[4:5]
	v_mov_b64_e32 v[2:3], v[0:1]
	s_andn2_b64 exec, exec, s[4:5]
	s_cbranch_execnz .LBB3_24
.LBB3_25:
	s_or_b64 exec, exec, s[6:7]
	s_mov_b32 s4, s33
	s_mov_b64 s[0:1], 0
.LBB3_26:                               ; =>This Inner Loop Header: Depth=1
	scratch_load_ubyte v1, off, s4
	s_add_i32 s4, s4, 1
	v_mov_b32_e32 v0, s4
	s_waitcnt vmcnt(0)
	v_cmp_eq_u16_e32 vcc, 0, v1
	s_or_b64 s[0:1], vcc, s[0:1]
	s_andn2_b64 exec, exec, s[0:1]
	s_cbranch_execnz .LBB3_26
; %bb.27:
	s_or_b64 exec, exec, s[0:1]
	s_cmp_lg_u32 s33, -1
	s_cbranch_scc0 .LBB3_112
; %bb.28:
	v_subrev_u32_e32 v28, s33, v0
	v_ashrrev_i32_e32 v29, 31, v28
	v_and_b32_e32 v32, 2, v6
	v_mov_b32_e32 v31, 0
	v_and_b32_e32 v0, -3, v6
	v_mov_b32_e32 v1, v7
	s_mov_b64 s[4:5], 0
	v_mov_b32_e32 v33, s33
	s_mov_b32 s16, 0
	s_movk_i32 s17, 0x1e0
	v_mov_b32_e32 v10, 2
	v_mov_b32_e32 v11, 1
	s_branch .LBB3_30
.LBB3_29:                               ;   in Loop: Header=BB3_30 Depth=1
	s_or_b64 exec, exec, s[10:11]
	v_sub_co_u32_e32 v28, vcc, v28, v34
	v_add_u32_e32 v33, v33, v34
	s_nop 0
	v_subb_co_u32_e32 v29, vcc, v29, v35, vcc
	v_cmp_eq_u64_e32 vcc, 0, v[28:29]
	s_or_b64 s[4:5], vcc, s[4:5]
	s_andn2_b64 exec, exec, s[4:5]
	s_cbranch_execz .LBB3_113
.LBB3_30:                               ; =>This Loop Header: Depth=1
                                        ;     Child Loop BB3_33 Depth 2
                                        ;     Child Loop BB3_41 Depth 2
                                        ;     Child Loop BB3_49 Depth 2
                                        ;     Child Loop BB3_57 Depth 2
                                        ;     Child Loop BB3_65 Depth 2
                                        ;     Child Loop BB3_73 Depth 2
                                        ;     Child Loop BB3_81 Depth 2
                                        ;     Child Loop BB3_89 Depth 2
                                        ;     Child Loop BB3_97 Depth 2
                                        ;     Child Loop BB3_106 Depth 2
                                        ;     Child Loop BB3_111 Depth 2
	v_cmp_gt_u64_e32 vcc, 56, v[28:29]
	v_add_u32_e32 v9, 8, v33
	s_nop 0
	v_cndmask_b32_e32 v35, 0, v29, vcc
	v_cndmask_b32_e32 v34, 56, v28, vcc
	v_cmp_gt_u64_e32 vcc, 8, v[28:29]
	s_and_saveexec_b64 s[0:1], vcc
	s_xor_b64 s[0:1], exec, s[0:1]
	s_cbranch_execz .LBB3_36
; %bb.31:                               ;   in Loop: Header=BB3_30 Depth=1
	v_mov_b64_e32 v[2:3], 0
	v_cmp_ne_u64_e32 vcc, 0, v[28:29]
	s_and_saveexec_b64 s[6:7], vcc
	s_cbranch_execz .LBB3_35
; %bb.32:                               ;   in Loop: Header=BB3_30 Depth=1
	v_lshlrev_b64 v[8:9], 3, v[34:35]
	s_mov_b64 s[10:11], 0
	v_mov_b64_e32 v[2:3], 0
	s_mov_b64 s[12:13], 0
	v_mov_b32_e32 v9, v33
.LBB3_33:                               ;   Parent Loop BB3_30 Depth=1
                                        ; =>  This Inner Loop Header: Depth=2
	scratch_load_ubyte v12, v9, off
	v_mov_b32_e32 v13, s16
	v_add_u32_e32 v9, 1, v9
	s_waitcnt vmcnt(0)
	v_and_b32_e32 v12, 0xffff, v12
	v_lshlrev_b64 v[12:13], s12, v[12:13]
	s_add_u32 s12, s12, 8
	s_addc_u32 s13, s13, 0
	v_cmp_eq_u32_e32 vcc, s12, v8
	v_or_b32_e32 v3, v13, v3
	s_or_b64 s[10:11], vcc, s[10:11]
	v_or_b32_e32 v2, v12, v2
	s_andn2_b64 exec, exec, s[10:11]
	s_cbranch_execnz .LBB3_33
; %bb.34:                               ;   in Loop: Header=BB3_30 Depth=1
	s_or_b64 exec, exec, s[10:11]
.LBB3_35:                               ;   in Loop: Header=BB3_30 Depth=1
	s_or_b64 exec, exec, s[6:7]
	v_mov_b32_e32 v9, v33
.LBB3_36:                               ;   in Loop: Header=BB3_30 Depth=1
	s_or_saveexec_b64 s[0:1], s[0:1]
	v_mov_b32_e32 v14, 0
	s_xor_b64 exec, exec, s[0:1]
	s_cbranch_execz .LBB3_38
; %bb.37:                               ;   in Loop: Header=BB3_30 Depth=1
	scratch_load_dwordx2 v[2:3], v33, off
	v_add_u32_e32 v14, -8, v34
.LBB3_38:                               ;   in Loop: Header=BB3_30 Depth=1
	s_or_b64 exec, exec, s[0:1]
	v_cmp_gt_u32_e32 vcc, 8, v14
	v_add_u32_e32 v8, 8, v9
                                        ; implicit-def: $vgpr12_vgpr13
	s_and_saveexec_b64 s[0:1], vcc
	s_xor_b64 s[0:1], exec, s[0:1]
	s_cbranch_execz .LBB3_44
; %bb.39:                               ;   in Loop: Header=BB3_30 Depth=1
	v_cmp_ne_u32_e32 vcc, 0, v14
	v_mov_b64_e32 v[12:13], 0
	s_and_saveexec_b64 s[6:7], vcc
	s_cbranch_execz .LBB3_43
; %bb.40:                               ;   in Loop: Header=BB3_30 Depth=1
	s_mov_b32 s14, 0
	s_mov_b64 s[10:11], 0
	v_mov_b64_e32 v[12:13], 0
	s_mov_b64 s[12:13], 0
.LBB3_41:                               ;   Parent Loop BB3_30 Depth=1
                                        ; =>  This Inner Loop Header: Depth=2
	v_add_u32_e32 v8, s14, v9
	scratch_load_ubyte v8, v8, off
	v_mov_b32_e32 v17, s16
	s_add_i32 s14, s14, 1
	v_cmp_eq_u32_e32 vcc, s14, v14
	s_waitcnt vmcnt(0)
	v_and_b32_e32 v16, 0xffff, v8
	v_lshlrev_b64 v[16:17], s12, v[16:17]
	s_add_u32 s12, s12, 8
	s_addc_u32 s13, s13, 0
	v_or_b32_e32 v13, v17, v13
	s_or_b64 s[10:11], vcc, s[10:11]
	v_or_b32_e32 v12, v16, v12
	s_andn2_b64 exec, exec, s[10:11]
	s_cbranch_execnz .LBB3_41
; %bb.42:                               ;   in Loop: Header=BB3_30 Depth=1
	s_or_b64 exec, exec, s[10:11]
.LBB3_43:                               ;   in Loop: Header=BB3_30 Depth=1
	s_or_b64 exec, exec, s[6:7]
	v_mov_b32_e32 v8, v9
                                        ; implicit-def: $vgpr14
.LBB3_44:                               ;   in Loop: Header=BB3_30 Depth=1
	s_or_saveexec_b64 s[0:1], s[0:1]
	v_mov_b32_e32 v16, 0
	s_xor_b64 exec, exec, s[0:1]
	s_cbranch_execz .LBB3_46
; %bb.45:                               ;   in Loop: Header=BB3_30 Depth=1
	scratch_load_dwordx2 v[12:13], v9, off
	v_add_u32_e32 v16, -8, v14
.LBB3_46:                               ;   in Loop: Header=BB3_30 Depth=1
	s_or_b64 exec, exec, s[0:1]
	v_cmp_gt_u32_e32 vcc, 8, v16
	v_add_u32_e32 v9, 8, v8
	s_and_saveexec_b64 s[0:1], vcc
	s_xor_b64 s[0:1], exec, s[0:1]
	s_cbranch_execz .LBB3_52
; %bb.47:                               ;   in Loop: Header=BB3_30 Depth=1
	v_cmp_ne_u32_e32 vcc, 0, v16
	v_mov_b64_e32 v[14:15], 0
	s_and_saveexec_b64 s[6:7], vcc
	s_cbranch_execz .LBB3_51
; %bb.48:                               ;   in Loop: Header=BB3_30 Depth=1
	s_mov_b32 s14, 0
	s_mov_b64 s[10:11], 0
	v_mov_b64_e32 v[14:15], 0
	s_mov_b64 s[12:13], 0
.LBB3_49:                               ;   Parent Loop BB3_30 Depth=1
                                        ; =>  This Inner Loop Header: Depth=2
	v_add_u32_e32 v9, s14, v8
	scratch_load_ubyte v9, v9, off
	v_mov_b32_e32 v19, s16
	s_add_i32 s14, s14, 1
	v_cmp_eq_u32_e32 vcc, s14, v16
	s_waitcnt vmcnt(0)
	v_and_b32_e32 v18, 0xffff, v9
	v_lshlrev_b64 v[18:19], s12, v[18:19]
	s_add_u32 s12, s12, 8
	s_addc_u32 s13, s13, 0
	v_or_b32_e32 v15, v19, v15
	s_or_b64 s[10:11], vcc, s[10:11]
	v_or_b32_e32 v14, v18, v14
	s_andn2_b64 exec, exec, s[10:11]
	s_cbranch_execnz .LBB3_49
; %bb.50:                               ;   in Loop: Header=BB3_30 Depth=1
	s_or_b64 exec, exec, s[10:11]
.LBB3_51:                               ;   in Loop: Header=BB3_30 Depth=1
	s_or_b64 exec, exec, s[6:7]
	v_mov_b32_e32 v9, v8
                                        ; implicit-def: $vgpr16
.LBB3_52:                               ;   in Loop: Header=BB3_30 Depth=1
	s_or_saveexec_b64 s[0:1], s[0:1]
	v_mov_b32_e32 v18, 0
	s_xor_b64 exec, exec, s[0:1]
	s_cbranch_execz .LBB3_54
; %bb.53:                               ;   in Loop: Header=BB3_30 Depth=1
	scratch_load_dwordx2 v[14:15], v8, off
	v_add_u32_e32 v18, -8, v16
.LBB3_54:                               ;   in Loop: Header=BB3_30 Depth=1
	s_or_b64 exec, exec, s[0:1]
	v_cmp_gt_u32_e32 vcc, 8, v18
	v_add_u32_e32 v8, 8, v9
                                        ; implicit-def: $vgpr16_vgpr17
	s_and_saveexec_b64 s[0:1], vcc
	s_xor_b64 s[0:1], exec, s[0:1]
	s_cbranch_execz .LBB3_60
; %bb.55:                               ;   in Loop: Header=BB3_30 Depth=1
	v_cmp_ne_u32_e32 vcc, 0, v18
	v_mov_b64_e32 v[16:17], 0
	s_and_saveexec_b64 s[6:7], vcc
	s_cbranch_execz .LBB3_59
; %bb.56:                               ;   in Loop: Header=BB3_30 Depth=1
	s_mov_b32 s14, 0
	s_mov_b64 s[10:11], 0
	v_mov_b64_e32 v[16:17], 0
	s_mov_b64 s[12:13], 0
.LBB3_57:                               ;   Parent Loop BB3_30 Depth=1
                                        ; =>  This Inner Loop Header: Depth=2
	v_add_u32_e32 v8, s14, v9
	scratch_load_ubyte v8, v8, off
	v_mov_b32_e32 v21, s16
	s_add_i32 s14, s14, 1
	v_cmp_eq_u32_e32 vcc, s14, v18
	s_waitcnt vmcnt(0)
	v_and_b32_e32 v20, 0xffff, v8
	v_lshlrev_b64 v[20:21], s12, v[20:21]
	s_add_u32 s12, s12, 8
	s_addc_u32 s13, s13, 0
	v_or_b32_e32 v17, v21, v17
	s_or_b64 s[10:11], vcc, s[10:11]
	v_or_b32_e32 v16, v20, v16
	s_andn2_b64 exec, exec, s[10:11]
	s_cbranch_execnz .LBB3_57
; %bb.58:                               ;   in Loop: Header=BB3_30 Depth=1
	s_or_b64 exec, exec, s[10:11]
.LBB3_59:                               ;   in Loop: Header=BB3_30 Depth=1
	s_or_b64 exec, exec, s[6:7]
	v_mov_b32_e32 v8, v9
                                        ; implicit-def: $vgpr18
.LBB3_60:                               ;   in Loop: Header=BB3_30 Depth=1
	s_or_saveexec_b64 s[0:1], s[0:1]
	v_mov_b32_e32 v20, 0
	s_xor_b64 exec, exec, s[0:1]
	s_cbranch_execz .LBB3_62
; %bb.61:                               ;   in Loop: Header=BB3_30 Depth=1
	scratch_load_dwordx2 v[16:17], v9, off
	v_add_u32_e32 v20, -8, v18
.LBB3_62:                               ;   in Loop: Header=BB3_30 Depth=1
	s_or_b64 exec, exec, s[0:1]
	v_cmp_gt_u32_e32 vcc, 8, v20
	v_add_u32_e32 v9, 8, v8
	s_and_saveexec_b64 s[0:1], vcc
	s_xor_b64 s[0:1], exec, s[0:1]
	s_cbranch_execz .LBB3_68
; %bb.63:                               ;   in Loop: Header=BB3_30 Depth=1
	v_cmp_ne_u32_e32 vcc, 0, v20
	v_mov_b64_e32 v[18:19], 0
	s_and_saveexec_b64 s[6:7], vcc
	s_cbranch_execz .LBB3_67
; %bb.64:                               ;   in Loop: Header=BB3_30 Depth=1
	s_mov_b32 s14, 0
	s_mov_b64 s[10:11], 0
	v_mov_b64_e32 v[18:19], 0
	s_mov_b64 s[12:13], 0
.LBB3_65:                               ;   Parent Loop BB3_30 Depth=1
                                        ; =>  This Inner Loop Header: Depth=2
	v_add_u32_e32 v9, s14, v8
	scratch_load_ubyte v9, v9, off
	v_mov_b32_e32 v23, s16
	s_add_i32 s14, s14, 1
	v_cmp_eq_u32_e32 vcc, s14, v20
	s_waitcnt vmcnt(0)
	v_and_b32_e32 v22, 0xffff, v9
	v_lshlrev_b64 v[22:23], s12, v[22:23]
	s_add_u32 s12, s12, 8
	s_addc_u32 s13, s13, 0
	v_or_b32_e32 v19, v23, v19
	s_or_b64 s[10:11], vcc, s[10:11]
	v_or_b32_e32 v18, v22, v18
	s_andn2_b64 exec, exec, s[10:11]
	s_cbranch_execnz .LBB3_65
; %bb.66:                               ;   in Loop: Header=BB3_30 Depth=1
	s_or_b64 exec, exec, s[10:11]
.LBB3_67:                               ;   in Loop: Header=BB3_30 Depth=1
	s_or_b64 exec, exec, s[6:7]
	v_mov_b32_e32 v9, v8
                                        ; implicit-def: $vgpr20
.LBB3_68:                               ;   in Loop: Header=BB3_30 Depth=1
	s_or_saveexec_b64 s[0:1], s[0:1]
	v_mov_b32_e32 v22, 0
	s_xor_b64 exec, exec, s[0:1]
	s_cbranch_execz .LBB3_70
; %bb.69:                               ;   in Loop: Header=BB3_30 Depth=1
	scratch_load_dwordx2 v[18:19], v8, off
	v_add_u32_e32 v22, -8, v20
.LBB3_70:                               ;   in Loop: Header=BB3_30 Depth=1
	s_or_b64 exec, exec, s[0:1]
	v_cmp_gt_u32_e32 vcc, 8, v22
	v_add_u32_e32 v8, 8, v9
                                        ; implicit-def: $vgpr20_vgpr21
	s_and_saveexec_b64 s[0:1], vcc
	s_xor_b64 s[0:1], exec, s[0:1]
	s_cbranch_execz .LBB3_76
; %bb.71:                               ;   in Loop: Header=BB3_30 Depth=1
	v_cmp_ne_u32_e32 vcc, 0, v22
	v_mov_b64_e32 v[20:21], 0
	s_and_saveexec_b64 s[6:7], vcc
	s_cbranch_execz .LBB3_75
; %bb.72:                               ;   in Loop: Header=BB3_30 Depth=1
	s_mov_b32 s14, 0
	s_mov_b64 s[10:11], 0
	v_mov_b64_e32 v[20:21], 0
	s_mov_b64 s[12:13], 0
.LBB3_73:                               ;   Parent Loop BB3_30 Depth=1
                                        ; =>  This Inner Loop Header: Depth=2
	v_add_u32_e32 v8, s14, v9
	scratch_load_ubyte v8, v8, off
	v_mov_b32_e32 v25, s16
	s_add_i32 s14, s14, 1
	v_cmp_eq_u32_e32 vcc, s14, v22
	s_waitcnt vmcnt(0)
	v_and_b32_e32 v24, 0xffff, v8
	v_lshlrev_b64 v[24:25], s12, v[24:25]
	s_add_u32 s12, s12, 8
	s_addc_u32 s13, s13, 0
	v_or_b32_e32 v21, v25, v21
	s_or_b64 s[10:11], vcc, s[10:11]
	v_or_b32_e32 v20, v24, v20
	s_andn2_b64 exec, exec, s[10:11]
	s_cbranch_execnz .LBB3_73
; %bb.74:                               ;   in Loop: Header=BB3_30 Depth=1
	s_or_b64 exec, exec, s[10:11]
.LBB3_75:                               ;   in Loop: Header=BB3_30 Depth=1
	s_or_b64 exec, exec, s[6:7]
	v_mov_b32_e32 v8, v9
                                        ; implicit-def: $vgpr22
.LBB3_76:                               ;   in Loop: Header=BB3_30 Depth=1
	s_or_saveexec_b64 s[0:1], s[0:1]
	v_mov_b32_e32 v24, 0
	s_xor_b64 exec, exec, s[0:1]
	s_cbranch_execz .LBB3_78
; %bb.77:                               ;   in Loop: Header=BB3_30 Depth=1
	scratch_load_dwordx2 v[20:21], v9, off
	v_add_u32_e32 v24, -8, v22
.LBB3_78:                               ;   in Loop: Header=BB3_30 Depth=1
	s_or_b64 exec, exec, s[0:1]
	v_cmp_gt_u32_e32 vcc, 8, v24
	s_and_saveexec_b64 s[0:1], vcc
	s_xor_b64 s[0:1], exec, s[0:1]
	s_cbranch_execz .LBB3_84
; %bb.79:                               ;   in Loop: Header=BB3_30 Depth=1
	v_cmp_ne_u32_e32 vcc, 0, v24
	v_mov_b64_e32 v[22:23], 0
	s_and_saveexec_b64 s[6:7], vcc
	s_cbranch_execz .LBB3_83
; %bb.80:                               ;   in Loop: Header=BB3_30 Depth=1
	s_mov_b64 s[10:11], 0
	v_mov_b64_e32 v[22:23], 0
	s_mov_b64 s[12:13], 0
.LBB3_81:                               ;   Parent Loop BB3_30 Depth=1
                                        ; =>  This Inner Loop Header: Depth=2
	scratch_load_ubyte v9, v8, off
	v_mov_b32_e32 v27, s16
	v_add_u32_e32 v24, -1, v24
	v_cmp_eq_u32_e32 vcc, 0, v24
	v_add_u32_e32 v8, 1, v8
	s_waitcnt vmcnt(0)
	v_and_b32_e32 v26, 0xffff, v9
	v_lshlrev_b64 v[26:27], s12, v[26:27]
	s_add_u32 s12, s12, 8
	s_addc_u32 s13, s13, 0
	v_or_b32_e32 v23, v27, v23
	s_or_b64 s[10:11], vcc, s[10:11]
	v_or_b32_e32 v22, v26, v22
	s_andn2_b64 exec, exec, s[10:11]
	s_cbranch_execnz .LBB3_81
; %bb.82:                               ;   in Loop: Header=BB3_30 Depth=1
	s_or_b64 exec, exec, s[10:11]
.LBB3_83:                               ;   in Loop: Header=BB3_30 Depth=1
	s_or_b64 exec, exec, s[6:7]
                                        ; implicit-def: $vgpr8
.LBB3_84:                               ;   in Loop: Header=BB3_30 Depth=1
	s_andn2_saveexec_b64 s[0:1], s[0:1]
	s_cbranch_execz .LBB3_86
; %bb.85:                               ;   in Loop: Header=BB3_30 Depth=1
	scratch_load_dwordx2 v[22:23], v8, off
.LBB3_86:                               ;   in Loop: Header=BB3_30 Depth=1
	s_or_b64 exec, exec, s[0:1]
	v_readfirstlane_b32 s0, v38
	v_mov_b64_e32 v[8:9], 0
	s_nop 0
	v_cmp_eq_u32_e64 s[0:1], s0, v38
	s_and_saveexec_b64 s[6:7], s[0:1]
	s_cbranch_execz .LBB3_92
; %bb.87:                               ;   in Loop: Header=BB3_30 Depth=1
	global_load_dwordx2 v[26:27], v31, s[2:3] offset:24 sc0 sc1
	s_waitcnt vmcnt(0)
	buffer_inv sc0 sc1
	global_load_dwordx2 v[8:9], v31, s[2:3] offset:40
	global_load_dwordx2 v[24:25], v31, s[2:3]
	s_waitcnt vmcnt(1)
	v_and_b32_e32 v8, v8, v26
	v_and_b32_e32 v9, v9, v27
	v_mul_lo_u32 v9, v9, 24
	v_mul_hi_u32 v36, v8, 24
	v_add_u32_e32 v9, v36, v9
	v_mul_lo_u32 v8, v8, 24
	s_waitcnt vmcnt(0)
	v_lshl_add_u64 v[8:9], v[24:25], 0, v[8:9]
	global_load_dwordx2 v[24:25], v[8:9], off sc0 sc1
	s_waitcnt vmcnt(0)
	global_atomic_cmpswap_x2 v[8:9], v31, v[24:27], s[2:3] offset:24 sc0 sc1
	s_waitcnt vmcnt(0)
	buffer_inv sc0 sc1
	v_cmp_ne_u64_e32 vcc, v[8:9], v[26:27]
	s_and_saveexec_b64 s[10:11], vcc
	s_cbranch_execz .LBB3_91
; %bb.88:                               ;   in Loop: Header=BB3_30 Depth=1
	s_mov_b64 s[12:13], 0
.LBB3_89:                               ;   Parent Loop BB3_30 Depth=1
                                        ; =>  This Inner Loop Header: Depth=2
	s_sleep 1
	global_load_dwordx2 v[24:25], v31, s[2:3] offset:40
	global_load_dwordx2 v[36:37], v31, s[2:3]
	v_mov_b64_e32 v[26:27], v[8:9]
	s_waitcnt vmcnt(1)
	v_and_b32_e32 v8, v24, v26
	s_waitcnt vmcnt(0)
	v_mad_u64_u32 v[8:9], s[14:15], v8, 24, v[36:37]
	v_and_b32_e32 v25, v25, v27
	v_mov_b32_e32 v24, v9
	v_mad_u64_u32 v[24:25], s[14:15], v25, 24, v[24:25]
	v_mov_b32_e32 v9, v24
	global_load_dwordx2 v[24:25], v[8:9], off sc0 sc1
	s_waitcnt vmcnt(0)
	global_atomic_cmpswap_x2 v[8:9], v31, v[24:27], s[2:3] offset:24 sc0 sc1
	s_waitcnt vmcnt(0)
	buffer_inv sc0 sc1
	v_cmp_eq_u64_e32 vcc, v[8:9], v[26:27]
	s_or_b64 s[12:13], vcc, s[12:13]
	s_andn2_b64 exec, exec, s[12:13]
	s_cbranch_execnz .LBB3_89
; %bb.90:                               ;   in Loop: Header=BB3_30 Depth=1
	s_or_b64 exec, exec, s[12:13]
.LBB3_91:                               ;   in Loop: Header=BB3_30 Depth=1
	s_or_b64 exec, exec, s[10:11]
.LBB3_92:                               ;   in Loop: Header=BB3_30 Depth=1
	s_or_b64 exec, exec, s[6:7]
	global_load_dwordx2 v[36:37], v31, s[2:3] offset:40
	global_load_dwordx4 v[24:27], v31, s[2:3]
	v_readfirstlane_b32 s7, v9
	v_readfirstlane_b32 s6, v8
	s_mov_b64 s[10:11], exec
	s_waitcnt vmcnt(1)
	v_readfirstlane_b32 s12, v36
	v_readfirstlane_b32 s13, v37
	s_and_b64 s[12:13], s[12:13], s[6:7]
	s_mul_i32 s14, s13, 24
	s_mul_hi_u32 s15, s12, 24
	s_add_i32 s15, s15, s14
	s_mul_i32 s14, s12, 24
	s_waitcnt vmcnt(0)
	v_lshl_add_u64 v[36:37], v[24:25], 0, s[14:15]
	s_and_saveexec_b64 s[14:15], s[0:1]
	s_cbranch_execz .LBB3_94
; %bb.93:                               ;   in Loop: Header=BB3_30 Depth=1
	v_mov_b64_e32 v[8:9], s[10:11]
	global_store_dwordx4 v[36:37], v[8:11], off offset:8
.LBB3_94:                               ;   in Loop: Header=BB3_30 Depth=1
	s_or_b64 exec, exec, s[14:15]
	s_lshl_b64 s[10:11], s[12:13], 12
	v_cmp_gt_u64_e32 vcc, 57, v[28:29]
	v_lshl_add_u64 v[8:9], v[26:27], 0, s[10:11]
	v_and_b32_e32 v0, 0xffffff1f, v0
	v_cndmask_b32_e32 v26, 0, v32, vcc
	v_lshl_add_u32 v27, v34, 2, 28
	v_or_b32_e32 v0, v0, v26
	v_and_or_b32 v0, v27, s17, v0
	v_readfirstlane_b32 s10, v8
	v_readfirstlane_b32 s11, v9
	s_nop 4
	global_store_dwordx4 v30, v[0:3], s[10:11]
	global_store_dwordx4 v30, v[12:15], s[10:11] offset:16
	global_store_dwordx4 v30, v[16:19], s[10:11] offset:32
	;; [unrolled: 1-line block ×3, first 2 shown]
	s_and_saveexec_b64 s[10:11], s[0:1]
	s_cbranch_execz .LBB3_102
; %bb.95:                               ;   in Loop: Header=BB3_30 Depth=1
	global_load_dwordx2 v[16:17], v31, s[2:3] offset:32 sc0 sc1
	global_load_dwordx2 v[0:1], v31, s[2:3] offset:40
	v_mov_b32_e32 v14, s6
	v_mov_b32_e32 v15, s7
	s_waitcnt vmcnt(0)
	v_readfirstlane_b32 s12, v0
	v_readfirstlane_b32 s13, v1
	s_and_b64 s[12:13], s[12:13], s[6:7]
	s_mul_i32 s13, s13, 24
	s_mul_hi_u32 s14, s12, 24
	s_mul_i32 s12, s12, 24
	s_add_i32 s13, s14, s13
	v_lshl_add_u64 v[12:13], v[24:25], 0, s[12:13]
	global_store_dwordx2 v[12:13], v[16:17], off
	buffer_wbl2 sc0 sc1
	s_waitcnt vmcnt(0)
	global_atomic_cmpswap_x2 v[2:3], v31, v[14:17], s[2:3] offset:32 sc0 sc1
	s_waitcnt vmcnt(0)
	v_cmp_ne_u64_e32 vcc, v[2:3], v[16:17]
	s_and_saveexec_b64 s[12:13], vcc
	s_cbranch_execz .LBB3_98
; %bb.96:                               ;   in Loop: Header=BB3_30 Depth=1
	s_mov_b64 s[14:15], 0
.LBB3_97:                               ;   Parent Loop BB3_30 Depth=1
                                        ; =>  This Inner Loop Header: Depth=2
	s_sleep 1
	global_store_dwordx2 v[12:13], v[2:3], off
	v_mov_b32_e32 v0, s6
	v_mov_b32_e32 v1, s7
	buffer_wbl2 sc0 sc1
	s_waitcnt vmcnt(0)
	global_atomic_cmpswap_x2 v[0:1], v31, v[0:3], s[2:3] offset:32 sc0 sc1
	s_waitcnt vmcnt(0)
	v_cmp_eq_u64_e32 vcc, v[0:1], v[2:3]
	s_or_b64 s[14:15], vcc, s[14:15]
	v_mov_b64_e32 v[2:3], v[0:1]
	s_andn2_b64 exec, exec, s[14:15]
	s_cbranch_execnz .LBB3_97
.LBB3_98:                               ;   in Loop: Header=BB3_30 Depth=1
	s_or_b64 exec, exec, s[12:13]
	global_load_dwordx2 v[0:1], v31, s[2:3] offset:16
	s_mov_b64 s[14:15], exec
	v_mbcnt_lo_u32_b32 v2, s14, 0
	v_mbcnt_hi_u32_b32 v2, s15, v2
	v_cmp_eq_u32_e32 vcc, 0, v2
	s_and_saveexec_b64 s[12:13], vcc
	s_cbranch_execz .LBB3_100
; %bb.99:                               ;   in Loop: Header=BB3_30 Depth=1
	s_bcnt1_i32_b64 s14, s[14:15]
	v_mov_b32_e32 v2, s14
	v_mov_b32_e32 v3, v31
	buffer_wbl2 sc0 sc1
	s_waitcnt vmcnt(0)
	global_atomic_add_x2 v[0:1], v[2:3], off offset:8 sc1
.LBB3_100:                              ;   in Loop: Header=BB3_30 Depth=1
	s_or_b64 exec, exec, s[12:13]
	s_waitcnt vmcnt(0)
	global_load_dwordx2 v[2:3], v[0:1], off offset:16
	s_waitcnt vmcnt(0)
	v_cmp_eq_u64_e32 vcc, 0, v[2:3]
	s_cbranch_vccnz .LBB3_102
; %bb.101:                              ;   in Loop: Header=BB3_30 Depth=1
	global_load_dword v0, v[0:1], off offset:24
	v_mov_b32_e32 v1, v31
	s_waitcnt vmcnt(0)
	v_readfirstlane_b32 s12, v0
	s_and_b32 m0, s12, 0xffffff
	buffer_wbl2 sc0 sc1
	global_store_dwordx2 v[2:3], v[0:1], off sc0 sc1
	s_sendmsg sendmsg(MSG_INTERRUPT)
.LBB3_102:                              ;   in Loop: Header=BB3_30 Depth=1
	s_or_b64 exec, exec, s[10:11]
	v_lshl_add_u64 v[0:1], v[8:9], 0, v[30:31]
	s_branch .LBB3_106
.LBB3_103:                              ;   in Loop: Header=BB3_106 Depth=2
	s_or_b64 exec, exec, s[10:11]
	v_readfirstlane_b32 s10, v2
	s_cmp_eq_u32 s10, 0
	s_cbranch_scc1 .LBB3_105
; %bb.104:                              ;   in Loop: Header=BB3_106 Depth=2
	s_sleep 1
	s_cbranch_execnz .LBB3_106
	s_branch .LBB3_108
.LBB3_105:                              ;   in Loop: Header=BB3_30 Depth=1
	s_branch .LBB3_108
.LBB3_106:                              ;   Parent Loop BB3_30 Depth=1
                                        ; =>  This Inner Loop Header: Depth=2
	v_mov_b32_e32 v2, 1
	s_and_saveexec_b64 s[10:11], s[0:1]
	s_cbranch_execz .LBB3_103
; %bb.107:                              ;   in Loop: Header=BB3_106 Depth=2
	global_load_dword v2, v[36:37], off offset:20 sc0 sc1
	s_waitcnt vmcnt(0)
	buffer_inv sc0 sc1
	v_and_b32_e32 v2, 1, v2
	s_branch .LBB3_103
.LBB3_108:                              ;   in Loop: Header=BB3_30 Depth=1
	global_load_dwordx2 v[0:1], v[0:1], off
	s_and_saveexec_b64 s[10:11], s[0:1]
	s_cbranch_execz .LBB3_29
; %bb.109:                              ;   in Loop: Header=BB3_30 Depth=1
	global_load_dwordx2 v[2:3], v31, s[2:3] offset:40
	global_load_dwordx2 v[16:17], v31, s[2:3] offset:24 sc0 sc1
	global_load_dwordx2 v[8:9], v31, s[2:3]
	s_waitcnt vmcnt(2)
	v_readfirstlane_b32 s12, v2
	v_readfirstlane_b32 s13, v3
	s_add_u32 s14, s12, 1
	s_addc_u32 s15, s13, 0
	s_add_u32 s0, s14, s6
	s_addc_u32 s1, s15, s7
	s_cmp_eq_u64 s[0:1], 0
	s_cselect_b32 s1, s15, s1
	s_cselect_b32 s0, s14, s0
	s_and_b64 s[6:7], s[0:1], s[12:13]
	s_mul_i32 s7, s7, 24
	s_mul_hi_u32 s12, s6, 24
	s_mul_i32 s6, s6, 24
	s_add_i32 s7, s12, s7
	s_waitcnt vmcnt(0)
	v_lshl_add_u64 v[2:3], v[8:9], 0, s[6:7]
	v_mov_b32_e32 v14, s0
	global_store_dwordx2 v[2:3], v[16:17], off
	v_mov_b32_e32 v15, s1
	buffer_wbl2 sc0 sc1
	s_waitcnt vmcnt(0)
	global_atomic_cmpswap_x2 v[14:15], v31, v[14:17], s[2:3] offset:24 sc0 sc1
	s_waitcnt vmcnt(0)
	v_cmp_ne_u64_e32 vcc, v[14:15], v[16:17]
	s_and_b64 exec, exec, vcc
	s_cbranch_execz .LBB3_29
; %bb.110:                              ;   in Loop: Header=BB3_30 Depth=1
	s_mov_b64 s[6:7], 0
.LBB3_111:                              ;   Parent Loop BB3_30 Depth=1
                                        ; =>  This Inner Loop Header: Depth=2
	s_sleep 1
	global_store_dwordx2 v[2:3], v[14:15], off
	v_mov_b32_e32 v12, s0
	v_mov_b32_e32 v13, s1
	buffer_wbl2 sc0 sc1
	s_waitcnt vmcnt(0)
	global_atomic_cmpswap_x2 v[8:9], v31, v[12:15], s[2:3] offset:24 sc0 sc1
	s_waitcnt vmcnt(0)
	v_cmp_eq_u64_e32 vcc, v[8:9], v[14:15]
	s_or_b64 s[6:7], vcc, s[6:7]
	v_mov_b64_e32 v[14:15], v[8:9]
	s_andn2_b64 exec, exec, s[6:7]
	s_cbranch_execnz .LBB3_111
	s_branch .LBB3_29
.LBB3_112:
                                        ; implicit-def: $vgpr0_vgpr1
	s_cbranch_execnz .LBB3_114
	s_branch .LBB3_140
.LBB3_113:
	s_or_b64 exec, exec, s[4:5]
	s_branch .LBB3_140
.LBB3_114:
	v_readfirstlane_b32 s0, v38
	v_mov_b64_e32 v[8:9], 0
	s_nop 0
	v_cmp_eq_u32_e64 s[0:1], s0, v38
	s_and_saveexec_b64 s[4:5], s[0:1]
	s_cbranch_execz .LBB3_120
; %bb.115:
	s_waitcnt vmcnt(0)
	v_mov_b32_e32 v0, 0
	global_load_dwordx2 v[10:11], v0, s[2:3] offset:24 sc0 sc1
	s_waitcnt vmcnt(0)
	buffer_inv sc0 sc1
	global_load_dwordx2 v[2:3], v0, s[2:3] offset:40
	global_load_dwordx2 v[8:9], v0, s[2:3]
	s_waitcnt vmcnt(1)
	v_and_b32_e32 v1, v2, v10
	v_and_b32_e32 v2, v3, v11
	v_mul_lo_u32 v2, v2, 24
	v_mul_hi_u32 v3, v1, 24
	v_add_u32_e32 v3, v3, v2
	v_mul_lo_u32 v2, v1, 24
	s_waitcnt vmcnt(0)
	v_lshl_add_u64 v[2:3], v[8:9], 0, v[2:3]
	global_load_dwordx2 v[8:9], v[2:3], off sc0 sc1
	s_waitcnt vmcnt(0)
	global_atomic_cmpswap_x2 v[8:9], v0, v[8:11], s[2:3] offset:24 sc0 sc1
	s_waitcnt vmcnt(0)
	buffer_inv sc0 sc1
	v_cmp_ne_u64_e32 vcc, v[8:9], v[10:11]
	s_and_saveexec_b64 s[6:7], vcc
	s_cbranch_execz .LBB3_119
; %bb.116:
	s_mov_b64 s[10:11], 0
.LBB3_117:                              ; =>This Inner Loop Header: Depth=1
	s_sleep 1
	global_load_dwordx2 v[2:3], v0, s[2:3] offset:40
	global_load_dwordx2 v[12:13], v0, s[2:3]
	v_mov_b64_e32 v[10:11], v[8:9]
	s_waitcnt vmcnt(1)
	v_and_b32_e32 v2, v2, v10
	v_and_b32_e32 v1, v3, v11
	s_waitcnt vmcnt(0)
	v_mad_u64_u32 v[2:3], s[12:13], v2, 24, v[12:13]
	v_mov_b32_e32 v8, v3
	v_mad_u64_u32 v[8:9], s[12:13], v1, 24, v[8:9]
	v_mov_b32_e32 v3, v8
	global_load_dwordx2 v[8:9], v[2:3], off sc0 sc1
	s_waitcnt vmcnt(0)
	global_atomic_cmpswap_x2 v[8:9], v0, v[8:11], s[2:3] offset:24 sc0 sc1
	s_waitcnt vmcnt(0)
	buffer_inv sc0 sc1
	v_cmp_eq_u64_e32 vcc, v[8:9], v[10:11]
	s_or_b64 s[10:11], vcc, s[10:11]
	s_andn2_b64 exec, exec, s[10:11]
	s_cbranch_execnz .LBB3_117
; %bb.118:
	s_or_b64 exec, exec, s[10:11]
.LBB3_119:
	s_or_b64 exec, exec, s[6:7]
.LBB3_120:
	s_or_b64 exec, exec, s[4:5]
	v_mov_b32_e32 v31, 0
	global_load_dwordx2 v[10:11], v31, s[2:3] offset:40
	global_load_dwordx4 v[0:3], v31, s[2:3]
	v_readfirstlane_b32 s5, v9
	v_readfirstlane_b32 s4, v8
	s_mov_b64 s[6:7], exec
	s_waitcnt vmcnt(1)
	v_readfirstlane_b32 s10, v10
	v_readfirstlane_b32 s11, v11
	s_and_b64 s[10:11], s[10:11], s[4:5]
	s_mul_i32 s12, s11, 24
	s_mul_hi_u32 s13, s10, 24
	s_add_i32 s13, s13, s12
	s_mul_i32 s12, s10, 24
	s_waitcnt vmcnt(0)
	v_lshl_add_u64 v[10:11], v[0:1], 0, s[12:13]
	s_and_saveexec_b64 s[12:13], s[0:1]
	s_cbranch_execz .LBB3_122
; %bb.121:
	v_mov_b64_e32 v[12:13], s[6:7]
	v_mov_b32_e32 v14, 2
	v_mov_b32_e32 v15, 1
	global_store_dwordx4 v[10:11], v[12:15], off offset:8
.LBB3_122:
	s_or_b64 exec, exec, s[12:13]
	s_lshl_b64 s[6:7], s[10:11], 12
	v_lshl_add_u64 v[12:13], v[2:3], 0, s[6:7]
	s_movk_i32 s6, 0xff1f
	s_mov_b32 s12, 0
	v_and_or_b32 v6, v6, s6, 32
	v_mov_b32_e32 v8, v31
	v_mov_b32_e32 v9, v31
	v_readfirstlane_b32 s6, v12
	v_readfirstlane_b32 s7, v13
	s_mov_b32 s13, s12
	s_mov_b32 s14, s12
	;; [unrolled: 1-line block ×3, first 2 shown]
	s_nop 1
	global_store_dwordx4 v30, v[6:9], s[6:7]
	s_nop 1
	v_mov_b64_e32 v[6:7], s[12:13]
	v_mov_b64_e32 v[8:9], s[14:15]
	global_store_dwordx4 v30, v[6:9], s[6:7] offset:16
	global_store_dwordx4 v30, v[6:9], s[6:7] offset:32
	;; [unrolled: 1-line block ×3, first 2 shown]
	s_and_saveexec_b64 s[6:7], s[0:1]
	s_cbranch_execz .LBB3_130
; %bb.123:
	v_mov_b32_e32 v8, 0
	global_load_dwordx2 v[16:17], v8, s[2:3] offset:32 sc0 sc1
	global_load_dwordx2 v[2:3], v8, s[2:3] offset:40
	v_mov_b32_e32 v14, s4
	v_mov_b32_e32 v15, s5
	s_waitcnt vmcnt(0)
	v_readfirstlane_b32 s10, v2
	v_readfirstlane_b32 s11, v3
	s_and_b64 s[10:11], s[10:11], s[4:5]
	s_mul_i32 s11, s11, 24
	s_mul_hi_u32 s12, s10, 24
	s_mul_i32 s10, s10, 24
	s_add_i32 s11, s12, s11
	v_lshl_add_u64 v[6:7], v[0:1], 0, s[10:11]
	global_store_dwordx2 v[6:7], v[16:17], off
	buffer_wbl2 sc0 sc1
	s_waitcnt vmcnt(0)
	global_atomic_cmpswap_x2 v[2:3], v8, v[14:17], s[2:3] offset:32 sc0 sc1
	s_waitcnt vmcnt(0)
	v_cmp_ne_u64_e32 vcc, v[2:3], v[16:17]
	s_and_saveexec_b64 s[10:11], vcc
	s_cbranch_execz .LBB3_126
; %bb.124:
	s_mov_b64 s[12:13], 0
.LBB3_125:                              ; =>This Inner Loop Header: Depth=1
	s_sleep 1
	global_store_dwordx2 v[6:7], v[2:3], off
	v_mov_b32_e32 v0, s4
	v_mov_b32_e32 v1, s5
	buffer_wbl2 sc0 sc1
	s_waitcnt vmcnt(0)
	global_atomic_cmpswap_x2 v[0:1], v8, v[0:3], s[2:3] offset:32 sc0 sc1
	s_waitcnt vmcnt(0)
	v_cmp_eq_u64_e32 vcc, v[0:1], v[2:3]
	s_or_b64 s[12:13], vcc, s[12:13]
	v_mov_b64_e32 v[2:3], v[0:1]
	s_andn2_b64 exec, exec, s[12:13]
	s_cbranch_execnz .LBB3_125
.LBB3_126:
	s_or_b64 exec, exec, s[10:11]
	v_mov_b32_e32 v3, 0
	global_load_dwordx2 v[0:1], v3, s[2:3] offset:16
	s_mov_b64 s[10:11], exec
	v_mbcnt_lo_u32_b32 v2, s10, 0
	v_mbcnt_hi_u32_b32 v2, s11, v2
	v_cmp_eq_u32_e32 vcc, 0, v2
	s_and_saveexec_b64 s[12:13], vcc
	s_cbranch_execz .LBB3_128
; %bb.127:
	s_bcnt1_i32_b64 s10, s[10:11]
	v_mov_b32_e32 v2, s10
	buffer_wbl2 sc0 sc1
	s_waitcnt vmcnt(0)
	global_atomic_add_x2 v[0:1], v[2:3], off offset:8 sc1
.LBB3_128:
	s_or_b64 exec, exec, s[12:13]
	s_waitcnt vmcnt(0)
	global_load_dwordx2 v[2:3], v[0:1], off offset:16
	s_waitcnt vmcnt(0)
	v_cmp_eq_u64_e32 vcc, 0, v[2:3]
	s_cbranch_vccnz .LBB3_130
; %bb.129:
	global_load_dword v0, v[0:1], off offset:24
	v_mov_b32_e32 v1, 0
	s_waitcnt vmcnt(0)
	v_readfirstlane_b32 s10, v0
	s_and_b32 m0, s10, 0xffffff
	buffer_wbl2 sc0 sc1
	global_store_dwordx2 v[2:3], v[0:1], off sc0 sc1
	s_sendmsg sendmsg(MSG_INTERRUPT)
.LBB3_130:
	s_or_b64 exec, exec, s[6:7]
	v_lshl_add_u64 v[0:1], v[12:13], 0, v[30:31]
	s_branch .LBB3_134
.LBB3_131:                              ;   in Loop: Header=BB3_134 Depth=1
	s_or_b64 exec, exec, s[6:7]
	v_readfirstlane_b32 s6, v2
	s_cmp_eq_u32 s6, 0
	s_cbranch_scc1 .LBB3_133
; %bb.132:                              ;   in Loop: Header=BB3_134 Depth=1
	s_sleep 1
	s_cbranch_execnz .LBB3_134
	s_branch .LBB3_136
.LBB3_133:
	s_branch .LBB3_136
.LBB3_134:                              ; =>This Inner Loop Header: Depth=1
	v_mov_b32_e32 v2, 1
	s_and_saveexec_b64 s[6:7], s[0:1]
	s_cbranch_execz .LBB3_131
; %bb.135:                              ;   in Loop: Header=BB3_134 Depth=1
	global_load_dword v2, v[10:11], off offset:20 sc0 sc1
	s_waitcnt vmcnt(0)
	buffer_inv sc0 sc1
	v_and_b32_e32 v2, 1, v2
	s_branch .LBB3_131
.LBB3_136:
	global_load_dwordx2 v[0:1], v[0:1], off
	s_and_saveexec_b64 s[6:7], s[0:1]
	s_cbranch_execz .LBB3_139
; %bb.137:
	v_mov_b32_e32 v10, 0
	global_load_dwordx2 v[2:3], v10, s[2:3] offset:40
	global_load_dwordx2 v[14:15], v10, s[2:3] offset:24 sc0 sc1
	global_load_dwordx2 v[6:7], v10, s[2:3]
	s_waitcnt vmcnt(2)
	v_readfirstlane_b32 s10, v2
	v_readfirstlane_b32 s11, v3
	s_add_u32 s12, s10, 1
	s_addc_u32 s13, s11, 0
	s_add_u32 s0, s12, s4
	s_addc_u32 s1, s13, s5
	s_cmp_eq_u64 s[0:1], 0
	s_cselect_b32 s1, s13, s1
	s_cselect_b32 s0, s12, s0
	s_and_b64 s[4:5], s[0:1], s[10:11]
	s_mul_i32 s5, s5, 24
	s_mul_hi_u32 s10, s4, 24
	s_mul_i32 s4, s4, 24
	s_add_i32 s5, s10, s5
	s_waitcnt vmcnt(0)
	v_lshl_add_u64 v[2:3], v[6:7], 0, s[4:5]
	v_mov_b32_e32 v12, s0
	global_store_dwordx2 v[2:3], v[14:15], off
	v_mov_b32_e32 v13, s1
	buffer_wbl2 sc0 sc1
	s_waitcnt vmcnt(0)
	global_atomic_cmpswap_x2 v[8:9], v10, v[12:15], s[2:3] offset:24 sc0 sc1
	s_mov_b64 s[4:5], 0
	s_waitcnt vmcnt(0)
	v_cmp_ne_u64_e32 vcc, v[8:9], v[14:15]
	s_and_b64 exec, exec, vcc
	s_cbranch_execz .LBB3_139
.LBB3_138:                              ; =>This Inner Loop Header: Depth=1
	s_sleep 1
	global_store_dwordx2 v[2:3], v[8:9], off
	v_mov_b32_e32 v6, s0
	v_mov_b32_e32 v7, s1
	buffer_wbl2 sc0 sc1
	s_waitcnt vmcnt(0)
	global_atomic_cmpswap_x2 v[6:7], v10, v[6:9], s[2:3] offset:24 sc0 sc1
	s_waitcnt vmcnt(0)
	v_cmp_eq_u64_e32 vcc, v[6:7], v[8:9]
	s_or_b64 s[4:5], vcc, s[4:5]
	v_mov_b64_e32 v[8:9], v[6:7]
	s_andn2_b64 exec, exec, s[4:5]
	s_cbranch_execnz .LBB3_138
.LBB3_139:
	s_or_b64 exec, exec, s[6:7]
.LBB3_140:
	s_getpc_b64 s[4:5]
	s_add_u32 s4, s4, .str.6@rel32@lo+4
	s_addc_u32 s5, s5, .str.6@rel32@hi+12
	s_cmp_lg_u64 s[4:5], 0
	s_cbranch_scc0 .LBB3_225
; %bb.141:
	s_getpc_b64 s[0:1]
	s_add_u32 s0, s0, .str.6@rel32@lo+80
	s_addc_u32 s1, s1, .str.6@rel32@hi+88
	s_sub_i32 s6, s0, s4
	s_ashr_i32 s7, s6, 31
	s_waitcnt vmcnt(0)
	v_and_b32_e32 v2, 2, v0
	v_mov_b32_e32 v33, 0
	v_and_b32_e32 v6, -3, v0
	v_mov_b32_e32 v7, v1
	v_mov_b32_e32 v12, 2
	;; [unrolled: 1-line block ×3, first 2 shown]
	s_branch .LBB3_143
.LBB3_142:                              ;   in Loop: Header=BB3_143 Depth=1
	s_or_b64 exec, exec, s[14:15]
	s_sub_u32 s6, s6, s10
	s_subb_u32 s7, s7, s11
	s_add_u32 s4, s4, s10
	s_addc_u32 s5, s5, s11
	s_cmp_lg_u64 s[6:7], 0
	s_cbranch_scc0 .LBB3_226
.LBB3_143:                              ; =>This Loop Header: Depth=1
                                        ;     Child Loop BB3_146 Depth 2
                                        ;     Child Loop BB3_154 Depth 2
	;; [unrolled: 1-line block ×11, first 2 shown]
	v_cmp_lt_u64_e64 s[0:1], s[6:7], 56
	s_and_b64 s[0:1], s[0:1], exec
	s_cselect_b32 s11, s7, 0
	s_cselect_b32 s10, s6, 56
	v_cmp_gt_u64_e64 s[12:13], s[6:7], 7
	s_add_u32 s0, s4, 8
	s_addc_u32 s1, s5, 0
	s_and_b64 vcc, exec, s[12:13]
	s_cbranch_vccnz .LBB3_147
; %bb.144:                              ;   in Loop: Header=BB3_143 Depth=1
	s_cmp_eq_u64 s[6:7], 0
	s_cbranch_scc1 .LBB3_148
; %bb.145:                              ;   in Loop: Header=BB3_143 Depth=1
	s_lshl_b64 s[0:1], s[10:11], 3
	s_mov_b64 s[12:13], 0
	v_mov_b64_e32 v[8:9], 0
	s_mov_b64 s[14:15], s[4:5]
.LBB3_146:                              ;   Parent Loop BB3_143 Depth=1
                                        ; =>  This Inner Loop Header: Depth=2
	global_load_ubyte v3, v33, s[14:15]
	s_waitcnt vmcnt(0)
	v_and_b32_e32 v32, 0xffff, v3
	v_lshlrev_b64 v[10:11], s12, v[32:33]
	s_add_u32 s12, s12, 8
	s_addc_u32 s13, s13, 0
	s_add_u32 s14, s14, 1
	s_addc_u32 s15, s15, 0
	v_or_b32_e32 v8, v10, v8
	s_cmp_lg_u32 s0, s12
	v_or_b32_e32 v9, v11, v9
	s_cbranch_scc1 .LBB3_146
	s_branch .LBB3_149
.LBB3_147:                              ;   in Loop: Header=BB3_143 Depth=1
	s_mov_b32 s16, 0
	s_branch .LBB3_150
.LBB3_148:                              ;   in Loop: Header=BB3_143 Depth=1
	v_mov_b64_e32 v[8:9], 0
.LBB3_149:                              ;   in Loop: Header=BB3_143 Depth=1
	s_mov_b64 s[0:1], s[4:5]
	s_mov_b32 s16, 0
	s_cbranch_execnz .LBB3_151
.LBB3_150:                              ;   in Loop: Header=BB3_143 Depth=1
	global_load_dwordx2 v[8:9], v33, s[4:5]
	s_add_i32 s16, s10, -8
.LBB3_151:                              ;   in Loop: Header=BB3_143 Depth=1
	s_add_u32 s12, s0, 8
	s_addc_u32 s13, s1, 0
	s_cmp_gt_u32 s16, 7
	s_cbranch_scc1 .LBB3_155
; %bb.152:                              ;   in Loop: Header=BB3_143 Depth=1
	s_cmp_eq_u32 s16, 0
	s_cbranch_scc1 .LBB3_156
; %bb.153:                              ;   in Loop: Header=BB3_143 Depth=1
	s_mov_b64 s[12:13], 0
	v_mov_b64_e32 v[14:15], 0
	s_mov_b64 s[14:15], 0
.LBB3_154:                              ;   Parent Loop BB3_143 Depth=1
                                        ; =>  This Inner Loop Header: Depth=2
	s_add_u32 s18, s0, s14
	s_addc_u32 s19, s1, s15
	global_load_ubyte v3, v33, s[18:19]
	s_add_u32 s14, s14, 1
	s_addc_u32 s15, s15, 0
	s_waitcnt vmcnt(0)
	v_and_b32_e32 v32, 0xffff, v3
	v_lshlrev_b64 v[10:11], s12, v[32:33]
	s_add_u32 s12, s12, 8
	s_addc_u32 s13, s13, 0
	v_or_b32_e32 v14, v10, v14
	s_cmp_lg_u32 s16, s14
	v_or_b32_e32 v15, v11, v15
	s_cbranch_scc1 .LBB3_154
	s_branch .LBB3_157
.LBB3_155:                              ;   in Loop: Header=BB3_143 Depth=1
                                        ; implicit-def: $vgpr14_vgpr15
	s_mov_b32 s17, 0
	s_branch .LBB3_158
.LBB3_156:                              ;   in Loop: Header=BB3_143 Depth=1
	v_mov_b64_e32 v[14:15], 0
.LBB3_157:                              ;   in Loop: Header=BB3_143 Depth=1
	s_mov_b64 s[12:13], s[0:1]
	s_mov_b32 s17, 0
	s_cbranch_execnz .LBB3_159
.LBB3_158:                              ;   in Loop: Header=BB3_143 Depth=1
	global_load_dwordx2 v[14:15], v33, s[0:1]
	s_add_i32 s17, s16, -8
.LBB3_159:                              ;   in Loop: Header=BB3_143 Depth=1
	s_add_u32 s0, s12, 8
	s_addc_u32 s1, s13, 0
	s_cmp_gt_u32 s17, 7
	s_cbranch_scc1 .LBB3_163
; %bb.160:                              ;   in Loop: Header=BB3_143 Depth=1
	s_cmp_eq_u32 s17, 0
	s_cbranch_scc1 .LBB3_164
; %bb.161:                              ;   in Loop: Header=BB3_143 Depth=1
	s_mov_b64 s[0:1], 0
	v_mov_b64_e32 v[16:17], 0
	s_mov_b64 s[14:15], 0
.LBB3_162:                              ;   Parent Loop BB3_143 Depth=1
                                        ; =>  This Inner Loop Header: Depth=2
	s_add_u32 s18, s12, s14
	s_addc_u32 s19, s13, s15
	global_load_ubyte v3, v33, s[18:19]
	s_add_u32 s14, s14, 1
	s_addc_u32 s15, s15, 0
	s_waitcnt vmcnt(0)
	v_and_b32_e32 v32, 0xffff, v3
	v_lshlrev_b64 v[10:11], s0, v[32:33]
	s_add_u32 s0, s0, 8
	s_addc_u32 s1, s1, 0
	v_or_b32_e32 v16, v10, v16
	s_cmp_lg_u32 s17, s14
	v_or_b32_e32 v17, v11, v17
	s_cbranch_scc1 .LBB3_162
	s_branch .LBB3_165
.LBB3_163:                              ;   in Loop: Header=BB3_143 Depth=1
	s_mov_b32 s16, 0
	s_branch .LBB3_166
.LBB3_164:                              ;   in Loop: Header=BB3_143 Depth=1
	v_mov_b64_e32 v[16:17], 0
.LBB3_165:                              ;   in Loop: Header=BB3_143 Depth=1
	s_mov_b64 s[0:1], s[12:13]
	s_mov_b32 s16, 0
	s_cbranch_execnz .LBB3_167
.LBB3_166:                              ;   in Loop: Header=BB3_143 Depth=1
	global_load_dwordx2 v[16:17], v33, s[12:13]
	s_add_i32 s16, s17, -8
.LBB3_167:                              ;   in Loop: Header=BB3_143 Depth=1
	s_add_u32 s12, s0, 8
	s_addc_u32 s13, s1, 0
	s_cmp_gt_u32 s16, 7
	s_cbranch_scc1 .LBB3_171
; %bb.168:                              ;   in Loop: Header=BB3_143 Depth=1
	s_cmp_eq_u32 s16, 0
	s_cbranch_scc1 .LBB3_172
; %bb.169:                              ;   in Loop: Header=BB3_143 Depth=1
	s_mov_b64 s[12:13], 0
	v_mov_b64_e32 v[18:19], 0
	s_mov_b64 s[14:15], 0
.LBB3_170:                              ;   Parent Loop BB3_143 Depth=1
                                        ; =>  This Inner Loop Header: Depth=2
	s_add_u32 s18, s0, s14
	s_addc_u32 s19, s1, s15
	global_load_ubyte v3, v33, s[18:19]
	s_add_u32 s14, s14, 1
	s_addc_u32 s15, s15, 0
	s_waitcnt vmcnt(0)
	v_and_b32_e32 v32, 0xffff, v3
	v_lshlrev_b64 v[10:11], s12, v[32:33]
	s_add_u32 s12, s12, 8
	s_addc_u32 s13, s13, 0
	v_or_b32_e32 v18, v10, v18
	s_cmp_lg_u32 s16, s14
	v_or_b32_e32 v19, v11, v19
	s_cbranch_scc1 .LBB3_170
	s_branch .LBB3_173
.LBB3_171:                              ;   in Loop: Header=BB3_143 Depth=1
                                        ; implicit-def: $vgpr18_vgpr19
	s_mov_b32 s17, 0
	s_branch .LBB3_174
.LBB3_172:                              ;   in Loop: Header=BB3_143 Depth=1
	v_mov_b64_e32 v[18:19], 0
.LBB3_173:                              ;   in Loop: Header=BB3_143 Depth=1
	s_mov_b64 s[12:13], s[0:1]
	s_mov_b32 s17, 0
	s_cbranch_execnz .LBB3_175
.LBB3_174:                              ;   in Loop: Header=BB3_143 Depth=1
	global_load_dwordx2 v[18:19], v33, s[0:1]
	s_add_i32 s17, s16, -8
.LBB3_175:                              ;   in Loop: Header=BB3_143 Depth=1
	s_add_u32 s0, s12, 8
	s_addc_u32 s1, s13, 0
	s_cmp_gt_u32 s17, 7
	s_cbranch_scc1 .LBB3_179
; %bb.176:                              ;   in Loop: Header=BB3_143 Depth=1
	s_cmp_eq_u32 s17, 0
	s_cbranch_scc1 .LBB3_180
; %bb.177:                              ;   in Loop: Header=BB3_143 Depth=1
	s_mov_b64 s[0:1], 0
	v_mov_b64_e32 v[20:21], 0
	s_mov_b64 s[14:15], 0
.LBB3_178:                              ;   Parent Loop BB3_143 Depth=1
                                        ; =>  This Inner Loop Header: Depth=2
	s_add_u32 s18, s12, s14
	s_addc_u32 s19, s13, s15
	global_load_ubyte v3, v33, s[18:19]
	s_add_u32 s14, s14, 1
	s_addc_u32 s15, s15, 0
	s_waitcnt vmcnt(0)
	v_and_b32_e32 v32, 0xffff, v3
	v_lshlrev_b64 v[10:11], s0, v[32:33]
	s_add_u32 s0, s0, 8
	s_addc_u32 s1, s1, 0
	v_or_b32_e32 v20, v10, v20
	s_cmp_lg_u32 s17, s14
	v_or_b32_e32 v21, v11, v21
	s_cbranch_scc1 .LBB3_178
	s_branch .LBB3_181
.LBB3_179:                              ;   in Loop: Header=BB3_143 Depth=1
	s_mov_b32 s16, 0
	s_branch .LBB3_182
.LBB3_180:                              ;   in Loop: Header=BB3_143 Depth=1
	v_mov_b64_e32 v[20:21], 0
.LBB3_181:                              ;   in Loop: Header=BB3_143 Depth=1
	s_mov_b64 s[0:1], s[12:13]
	s_mov_b32 s16, 0
	s_cbranch_execnz .LBB3_183
.LBB3_182:                              ;   in Loop: Header=BB3_143 Depth=1
	global_load_dwordx2 v[20:21], v33, s[12:13]
	s_add_i32 s16, s17, -8
.LBB3_183:                              ;   in Loop: Header=BB3_143 Depth=1
	s_add_u32 s12, s0, 8
	s_addc_u32 s13, s1, 0
	s_cmp_gt_u32 s16, 7
	s_cbranch_scc1 .LBB3_187
; %bb.184:                              ;   in Loop: Header=BB3_143 Depth=1
	s_cmp_eq_u32 s16, 0
	s_cbranch_scc1 .LBB3_188
; %bb.185:                              ;   in Loop: Header=BB3_143 Depth=1
	s_mov_b64 s[12:13], 0
	v_mov_b64_e32 v[22:23], 0
	s_mov_b64 s[14:15], 0
.LBB3_186:                              ;   Parent Loop BB3_143 Depth=1
                                        ; =>  This Inner Loop Header: Depth=2
	s_add_u32 s18, s0, s14
	s_addc_u32 s19, s1, s15
	global_load_ubyte v3, v33, s[18:19]
	s_add_u32 s14, s14, 1
	s_addc_u32 s15, s15, 0
	s_waitcnt vmcnt(0)
	v_and_b32_e32 v32, 0xffff, v3
	v_lshlrev_b64 v[10:11], s12, v[32:33]
	s_add_u32 s12, s12, 8
	s_addc_u32 s13, s13, 0
	v_or_b32_e32 v22, v10, v22
	s_cmp_lg_u32 s16, s14
	v_or_b32_e32 v23, v11, v23
	s_cbranch_scc1 .LBB3_186
	s_branch .LBB3_189
.LBB3_187:                              ;   in Loop: Header=BB3_143 Depth=1
                                        ; implicit-def: $vgpr22_vgpr23
	s_mov_b32 s17, 0
	s_branch .LBB3_190
.LBB3_188:                              ;   in Loop: Header=BB3_143 Depth=1
	v_mov_b64_e32 v[22:23], 0
.LBB3_189:                              ;   in Loop: Header=BB3_143 Depth=1
	s_mov_b64 s[12:13], s[0:1]
	s_mov_b32 s17, 0
	s_cbranch_execnz .LBB3_191
.LBB3_190:                              ;   in Loop: Header=BB3_143 Depth=1
	global_load_dwordx2 v[22:23], v33, s[0:1]
	s_add_i32 s17, s16, -8
.LBB3_191:                              ;   in Loop: Header=BB3_143 Depth=1
	s_cmp_gt_u32 s17, 7
	s_cbranch_scc1 .LBB3_195
; %bb.192:                              ;   in Loop: Header=BB3_143 Depth=1
	s_cmp_eq_u32 s17, 0
	s_cbranch_scc1 .LBB3_196
; %bb.193:                              ;   in Loop: Header=BB3_143 Depth=1
	s_mov_b64 s[0:1], 0
	v_mov_b64_e32 v[24:25], 0
	s_mov_b64 s[14:15], s[12:13]
.LBB3_194:                              ;   Parent Loop BB3_143 Depth=1
                                        ; =>  This Inner Loop Header: Depth=2
	global_load_ubyte v3, v33, s[14:15]
	s_add_i32 s17, s17, -1
	s_waitcnt vmcnt(0)
	v_and_b32_e32 v32, 0xffff, v3
	v_lshlrev_b64 v[10:11], s0, v[32:33]
	s_add_u32 s0, s0, 8
	s_addc_u32 s1, s1, 0
	s_add_u32 s14, s14, 1
	s_addc_u32 s15, s15, 0
	v_or_b32_e32 v24, v10, v24
	s_cmp_lg_u32 s17, 0
	v_or_b32_e32 v25, v11, v25
	s_cbranch_scc1 .LBB3_194
	s_branch .LBB3_197
.LBB3_195:                              ;   in Loop: Header=BB3_143 Depth=1
	s_branch .LBB3_198
.LBB3_196:                              ;   in Loop: Header=BB3_143 Depth=1
	v_mov_b64_e32 v[24:25], 0
.LBB3_197:                              ;   in Loop: Header=BB3_143 Depth=1
	s_cbranch_execnz .LBB3_199
.LBB3_198:                              ;   in Loop: Header=BB3_143 Depth=1
	global_load_dwordx2 v[24:25], v33, s[12:13]
.LBB3_199:                              ;   in Loop: Header=BB3_143 Depth=1
	v_readfirstlane_b32 s0, v38
	v_mov_b64_e32 v[10:11], 0
	s_nop 0
	v_cmp_eq_u32_e64 s[0:1], s0, v38
	s_and_saveexec_b64 s[12:13], s[0:1]
	s_cbranch_execz .LBB3_205
; %bb.200:                              ;   in Loop: Header=BB3_143 Depth=1
	global_load_dwordx2 v[28:29], v33, s[2:3] offset:24 sc0 sc1
	s_waitcnt vmcnt(0)
	buffer_inv sc0 sc1
	global_load_dwordx2 v[10:11], v33, s[2:3] offset:40
	global_load_dwordx2 v[26:27], v33, s[2:3]
	s_waitcnt vmcnt(1)
	v_and_b32_e32 v3, v10, v28
	v_and_b32_e32 v10, v11, v29
	v_mul_lo_u32 v10, v10, 24
	v_mul_hi_u32 v11, v3, 24
	v_add_u32_e32 v11, v11, v10
	v_mul_lo_u32 v10, v3, 24
	s_waitcnt vmcnt(0)
	v_lshl_add_u64 v[10:11], v[26:27], 0, v[10:11]
	global_load_dwordx2 v[26:27], v[10:11], off sc0 sc1
	s_waitcnt vmcnt(0)
	global_atomic_cmpswap_x2 v[10:11], v33, v[26:29], s[2:3] offset:24 sc0 sc1
	s_waitcnt vmcnt(0)
	buffer_inv sc0 sc1
	v_cmp_ne_u64_e32 vcc, v[10:11], v[28:29]
	s_and_saveexec_b64 s[14:15], vcc
	s_cbranch_execz .LBB3_204
; %bb.201:                              ;   in Loop: Header=BB3_143 Depth=1
	s_mov_b64 s[16:17], 0
.LBB3_202:                              ;   Parent Loop BB3_143 Depth=1
                                        ; =>  This Inner Loop Header: Depth=2
	s_sleep 1
	global_load_dwordx2 v[26:27], v33, s[2:3] offset:40
	global_load_dwordx2 v[34:35], v33, s[2:3]
	v_mov_b64_e32 v[28:29], v[10:11]
	s_waitcnt vmcnt(1)
	v_and_b32_e32 v10, v26, v28
	s_waitcnt vmcnt(0)
	v_mad_u64_u32 v[10:11], s[18:19], v10, 24, v[34:35]
	v_and_b32_e32 v3, v27, v29
	v_mov_b32_e32 v26, v11
	v_mad_u64_u32 v[26:27], s[18:19], v3, 24, v[26:27]
	v_mov_b32_e32 v11, v26
	global_load_dwordx2 v[26:27], v[10:11], off sc0 sc1
	s_waitcnt vmcnt(0)
	global_atomic_cmpswap_x2 v[10:11], v33, v[26:29], s[2:3] offset:24 sc0 sc1
	s_waitcnt vmcnt(0)
	buffer_inv sc0 sc1
	v_cmp_eq_u64_e32 vcc, v[10:11], v[28:29]
	s_or_b64 s[16:17], vcc, s[16:17]
	s_andn2_b64 exec, exec, s[16:17]
	s_cbranch_execnz .LBB3_202
; %bb.203:                              ;   in Loop: Header=BB3_143 Depth=1
	s_or_b64 exec, exec, s[16:17]
.LBB3_204:                              ;   in Loop: Header=BB3_143 Depth=1
	s_or_b64 exec, exec, s[14:15]
.LBB3_205:                              ;   in Loop: Header=BB3_143 Depth=1
	s_or_b64 exec, exec, s[12:13]
	global_load_dwordx2 v[34:35], v33, s[2:3] offset:40
	global_load_dwordx4 v[26:29], v33, s[2:3]
	v_readfirstlane_b32 s13, v11
	v_readfirstlane_b32 s12, v10
	s_mov_b64 s[14:15], exec
	s_waitcnt vmcnt(1)
	v_readfirstlane_b32 s16, v34
	v_readfirstlane_b32 s17, v35
	s_and_b64 s[16:17], s[16:17], s[12:13]
	s_mul_i32 s18, s17, 24
	s_mul_hi_u32 s19, s16, 24
	s_add_i32 s19, s19, s18
	s_mul_i32 s18, s16, 24
	s_waitcnt vmcnt(0)
	v_lshl_add_u64 v[34:35], v[26:27], 0, s[18:19]
	s_and_saveexec_b64 s[18:19], s[0:1]
	s_cbranch_execz .LBB3_207
; %bb.206:                              ;   in Loop: Header=BB3_143 Depth=1
	v_mov_b64_e32 v[10:11], s[14:15]
	global_store_dwordx4 v[34:35], v[10:13], off offset:8
.LBB3_207:                              ;   in Loop: Header=BB3_143 Depth=1
	s_or_b64 exec, exec, s[18:19]
	s_lshl_b64 s[14:15], s[16:17], 12
	v_lshl_add_u64 v[10:11], v[28:29], 0, s[14:15]
	v_cmp_lt_u64_e64 vcc, s[6:7], 57
	s_lshl_b32 s14, s10, 2
	s_add_i32 s14, s14, 28
	v_cndmask_b32_e32 v3, 0, v2, vcc
	v_and_b32_e32 v6, 0xffffff1f, v6
	s_and_b32 s14, s14, 0x1e0
	v_or_b32_e32 v3, v6, v3
	v_or_b32_e32 v6, s14, v3
	v_readfirstlane_b32 s14, v10
	v_readfirstlane_b32 s15, v11
	s_nop 4
	global_store_dwordx4 v30, v[6:9], s[14:15]
	global_store_dwordx4 v30, v[14:17], s[14:15] offset:16
	global_store_dwordx4 v30, v[18:21], s[14:15] offset:32
	;; [unrolled: 1-line block ×3, first 2 shown]
	s_and_saveexec_b64 s[14:15], s[0:1]
	s_cbranch_execz .LBB3_215
; %bb.208:                              ;   in Loop: Header=BB3_143 Depth=1
	global_load_dwordx2 v[18:19], v33, s[2:3] offset:32 sc0 sc1
	global_load_dwordx2 v[6:7], v33, s[2:3] offset:40
	v_mov_b32_e32 v16, s12
	v_mov_b32_e32 v17, s13
	s_waitcnt vmcnt(0)
	v_readfirstlane_b32 s16, v6
	v_readfirstlane_b32 s17, v7
	s_and_b64 s[16:17], s[16:17], s[12:13]
	s_mul_i32 s17, s17, 24
	s_mul_hi_u32 s18, s16, 24
	s_mul_i32 s16, s16, 24
	s_add_i32 s17, s18, s17
	v_lshl_add_u64 v[14:15], v[26:27], 0, s[16:17]
	global_store_dwordx2 v[14:15], v[18:19], off
	buffer_wbl2 sc0 sc1
	s_waitcnt vmcnt(0)
	global_atomic_cmpswap_x2 v[8:9], v33, v[16:19], s[2:3] offset:32 sc0 sc1
	s_waitcnt vmcnt(0)
	v_cmp_ne_u64_e32 vcc, v[8:9], v[18:19]
	s_and_saveexec_b64 s[16:17], vcc
	s_cbranch_execz .LBB3_211
; %bb.209:                              ;   in Loop: Header=BB3_143 Depth=1
	s_mov_b64 s[18:19], 0
.LBB3_210:                              ;   Parent Loop BB3_143 Depth=1
                                        ; =>  This Inner Loop Header: Depth=2
	s_sleep 1
	global_store_dwordx2 v[14:15], v[8:9], off
	v_mov_b32_e32 v6, s12
	v_mov_b32_e32 v7, s13
	buffer_wbl2 sc0 sc1
	s_waitcnt vmcnt(0)
	global_atomic_cmpswap_x2 v[6:7], v33, v[6:9], s[2:3] offset:32 sc0 sc1
	s_waitcnt vmcnt(0)
	v_cmp_eq_u64_e32 vcc, v[6:7], v[8:9]
	s_or_b64 s[18:19], vcc, s[18:19]
	v_mov_b64_e32 v[8:9], v[6:7]
	s_andn2_b64 exec, exec, s[18:19]
	s_cbranch_execnz .LBB3_210
.LBB3_211:                              ;   in Loop: Header=BB3_143 Depth=1
	s_or_b64 exec, exec, s[16:17]
	global_load_dwordx2 v[6:7], v33, s[2:3] offset:16
	s_mov_b64 s[18:19], exec
	v_mbcnt_lo_u32_b32 v3, s18, 0
	v_mbcnt_hi_u32_b32 v3, s19, v3
	v_cmp_eq_u32_e32 vcc, 0, v3
	s_and_saveexec_b64 s[16:17], vcc
	s_cbranch_execz .LBB3_213
; %bb.212:                              ;   in Loop: Header=BB3_143 Depth=1
	s_bcnt1_i32_b64 s18, s[18:19]
	v_mov_b32_e32 v32, s18
	buffer_wbl2 sc0 sc1
	s_waitcnt vmcnt(0)
	global_atomic_add_x2 v[6:7], v[32:33], off offset:8 sc1
.LBB3_213:                              ;   in Loop: Header=BB3_143 Depth=1
	s_or_b64 exec, exec, s[16:17]
	s_waitcnt vmcnt(0)
	global_load_dwordx2 v[8:9], v[6:7], off offset:16
	s_waitcnt vmcnt(0)
	v_cmp_eq_u64_e32 vcc, 0, v[8:9]
	s_cbranch_vccnz .LBB3_215
; %bb.214:                              ;   in Loop: Header=BB3_143 Depth=1
	global_load_dword v32, v[6:7], off offset:24
	s_waitcnt vmcnt(0)
	v_readfirstlane_b32 s16, v32
	s_and_b32 m0, s16, 0xffffff
	buffer_wbl2 sc0 sc1
	global_store_dwordx2 v[8:9], v[32:33], off sc0 sc1
	s_sendmsg sendmsg(MSG_INTERRUPT)
.LBB3_215:                              ;   in Loop: Header=BB3_143 Depth=1
	s_or_b64 exec, exec, s[14:15]
	v_mov_b32_e32 v31, v33
	v_lshl_add_u64 v[6:7], v[10:11], 0, v[30:31]
	s_branch .LBB3_219
.LBB3_216:                              ;   in Loop: Header=BB3_219 Depth=2
	s_or_b64 exec, exec, s[14:15]
	v_readfirstlane_b32 s14, v3
	s_cmp_eq_u32 s14, 0
	s_cbranch_scc1 .LBB3_218
; %bb.217:                              ;   in Loop: Header=BB3_219 Depth=2
	s_sleep 1
	s_cbranch_execnz .LBB3_219
	s_branch .LBB3_221
.LBB3_218:                              ;   in Loop: Header=BB3_143 Depth=1
	s_branch .LBB3_221
.LBB3_219:                              ;   Parent Loop BB3_143 Depth=1
                                        ; =>  This Inner Loop Header: Depth=2
	v_mov_b32_e32 v3, 1
	s_and_saveexec_b64 s[14:15], s[0:1]
	s_cbranch_execz .LBB3_216
; %bb.220:                              ;   in Loop: Header=BB3_219 Depth=2
	global_load_dword v3, v[34:35], off offset:20 sc0 sc1
	s_waitcnt vmcnt(0)
	buffer_inv sc0 sc1
	v_and_b32_e32 v3, 1, v3
	s_branch .LBB3_216
.LBB3_221:                              ;   in Loop: Header=BB3_143 Depth=1
	global_load_dwordx2 v[6:7], v[6:7], off
	s_and_saveexec_b64 s[14:15], s[0:1]
	s_cbranch_execz .LBB3_142
; %bb.222:                              ;   in Loop: Header=BB3_143 Depth=1
	global_load_dwordx2 v[8:9], v33, s[2:3] offset:40
	global_load_dwordx2 v[18:19], v33, s[2:3] offset:24 sc0 sc1
	global_load_dwordx2 v[10:11], v33, s[2:3]
	s_waitcnt vmcnt(2)
	v_readfirstlane_b32 s16, v8
	v_readfirstlane_b32 s17, v9
	s_add_u32 s18, s16, 1
	s_addc_u32 s19, s17, 0
	s_add_u32 s0, s18, s12
	s_addc_u32 s1, s19, s13
	s_cmp_eq_u64 s[0:1], 0
	s_cselect_b32 s1, s19, s1
	s_cselect_b32 s0, s18, s0
	s_and_b64 s[12:13], s[0:1], s[16:17]
	s_mul_i32 s13, s13, 24
	s_mul_hi_u32 s16, s12, 24
	s_mul_i32 s12, s12, 24
	s_add_i32 s13, s16, s13
	s_waitcnt vmcnt(0)
	v_lshl_add_u64 v[14:15], v[10:11], 0, s[12:13]
	v_mov_b32_e32 v16, s0
	global_store_dwordx2 v[14:15], v[18:19], off
	v_mov_b32_e32 v17, s1
	buffer_wbl2 sc0 sc1
	s_waitcnt vmcnt(0)
	global_atomic_cmpswap_x2 v[10:11], v33, v[16:19], s[2:3] offset:24 sc0 sc1
	s_waitcnt vmcnt(0)
	v_cmp_ne_u64_e32 vcc, v[10:11], v[18:19]
	s_and_b64 exec, exec, vcc
	s_cbranch_execz .LBB3_142
; %bb.223:                              ;   in Loop: Header=BB3_143 Depth=1
	s_mov_b64 s[12:13], 0
.LBB3_224:                              ;   Parent Loop BB3_143 Depth=1
                                        ; =>  This Inner Loop Header: Depth=2
	s_sleep 1
	global_store_dwordx2 v[14:15], v[10:11], off
	v_mov_b32_e32 v8, s0
	v_mov_b32_e32 v9, s1
	buffer_wbl2 sc0 sc1
	s_waitcnt vmcnt(0)
	global_atomic_cmpswap_x2 v[8:9], v33, v[8:11], s[2:3] offset:24 sc0 sc1
	s_waitcnt vmcnt(0)
	v_cmp_eq_u64_e32 vcc, v[8:9], v[10:11]
	s_or_b64 s[12:13], vcc, s[12:13]
	v_mov_b64_e32 v[10:11], v[8:9]
	s_andn2_b64 exec, exec, s[12:13]
	s_cbranch_execnz .LBB3_224
	s_branch .LBB3_142
.LBB3_225:
                                        ; implicit-def: $vgpr6_vgpr7
	s_cbranch_execnz .LBB3_227
	s_branch .LBB3_253
.LBB3_226:
	s_branch .LBB3_253
.LBB3_227:
	v_readfirstlane_b32 s0, v38
	v_mov_b64_e32 v[2:3], 0
	s_nop 0
	v_cmp_eq_u32_e64 s[0:1], s0, v38
	s_and_saveexec_b64 s[4:5], s[0:1]
	s_cbranch_execz .LBB3_233
; %bb.228:
	s_waitcnt vmcnt(0)
	v_mov_b32_e32 v6, 0
	global_load_dwordx2 v[10:11], v6, s[2:3] offset:24 sc0 sc1
	s_waitcnt vmcnt(0)
	buffer_inv sc0 sc1
	global_load_dwordx2 v[2:3], v6, s[2:3] offset:40
	global_load_dwordx2 v[8:9], v6, s[2:3]
	s_waitcnt vmcnt(1)
	v_and_b32_e32 v2, v2, v10
	v_and_b32_e32 v3, v3, v11
	v_mul_lo_u32 v3, v3, 24
	v_mul_hi_u32 v7, v2, 24
	v_add_u32_e32 v3, v7, v3
	v_mul_lo_u32 v2, v2, 24
	s_waitcnt vmcnt(0)
	v_lshl_add_u64 v[2:3], v[8:9], 0, v[2:3]
	global_load_dwordx2 v[8:9], v[2:3], off sc0 sc1
	s_waitcnt vmcnt(0)
	global_atomic_cmpswap_x2 v[2:3], v6, v[8:11], s[2:3] offset:24 sc0 sc1
	s_waitcnt vmcnt(0)
	buffer_inv sc0 sc1
	v_cmp_ne_u64_e32 vcc, v[2:3], v[10:11]
	s_and_saveexec_b64 s[6:7], vcc
	s_cbranch_execz .LBB3_232
; %bb.229:
	s_mov_b64 s[10:11], 0
.LBB3_230:                              ; =>This Inner Loop Header: Depth=1
	s_sleep 1
	global_load_dwordx2 v[8:9], v6, s[2:3] offset:40
	global_load_dwordx2 v[12:13], v6, s[2:3]
	v_mov_b64_e32 v[10:11], v[2:3]
	s_waitcnt vmcnt(1)
	v_and_b32_e32 v2, v8, v10
	s_waitcnt vmcnt(0)
	v_mad_u64_u32 v[2:3], s[12:13], v2, 24, v[12:13]
	v_and_b32_e32 v7, v9, v11
	v_mov_b32_e32 v8, v3
	v_mad_u64_u32 v[8:9], s[12:13], v7, 24, v[8:9]
	v_mov_b32_e32 v3, v8
	global_load_dwordx2 v[8:9], v[2:3], off sc0 sc1
	s_waitcnt vmcnt(0)
	global_atomic_cmpswap_x2 v[2:3], v6, v[8:11], s[2:3] offset:24 sc0 sc1
	s_waitcnt vmcnt(0)
	buffer_inv sc0 sc1
	v_cmp_eq_u64_e32 vcc, v[2:3], v[10:11]
	s_or_b64 s[10:11], vcc, s[10:11]
	s_andn2_b64 exec, exec, s[10:11]
	s_cbranch_execnz .LBB3_230
; %bb.231:
	s_or_b64 exec, exec, s[10:11]
.LBB3_232:
	s_or_b64 exec, exec, s[6:7]
.LBB3_233:
	s_or_b64 exec, exec, s[4:5]
	v_mov_b32_e32 v31, 0
	global_load_dwordx2 v[10:11], v31, s[2:3] offset:40
	global_load_dwordx4 v[6:9], v31, s[2:3]
	v_readfirstlane_b32 s5, v3
	v_readfirstlane_b32 s4, v2
	s_mov_b64 s[6:7], exec
	s_waitcnt vmcnt(1)
	v_readfirstlane_b32 s10, v10
	v_readfirstlane_b32 s11, v11
	s_and_b64 s[10:11], s[10:11], s[4:5]
	s_mul_i32 s12, s11, 24
	s_mul_hi_u32 s13, s10, 24
	s_add_i32 s13, s13, s12
	s_mul_i32 s12, s10, 24
	s_waitcnt vmcnt(0)
	v_lshl_add_u64 v[10:11], v[6:7], 0, s[12:13]
	s_and_saveexec_b64 s[12:13], s[0:1]
	s_cbranch_execz .LBB3_235
; %bb.234:
	v_mov_b64_e32 v[12:13], s[6:7]
	v_mov_b32_e32 v14, 2
	v_mov_b32_e32 v15, 1
	global_store_dwordx4 v[10:11], v[12:15], off offset:8
.LBB3_235:
	s_or_b64 exec, exec, s[12:13]
	s_lshl_b64 s[6:7], s[10:11], 12
	v_lshl_add_u64 v[8:9], v[8:9], 0, s[6:7]
	s_movk_i32 s6, 0xff1f
	s_mov_b32 s12, 0
	v_and_or_b32 v0, v0, s6, 32
	v_mov_b32_e32 v2, v31
	v_mov_b32_e32 v3, v31
	v_readfirstlane_b32 s6, v8
	v_readfirstlane_b32 s7, v9
	s_mov_b32 s13, s12
	s_mov_b32 s14, s12
	;; [unrolled: 1-line block ×3, first 2 shown]
	s_nop 1
	global_store_dwordx4 v30, v[0:3], s[6:7]
	s_nop 1
	v_mov_b64_e32 v[0:1], s[12:13]
	v_mov_b64_e32 v[2:3], s[14:15]
	global_store_dwordx4 v30, v[0:3], s[6:7] offset:16
	global_store_dwordx4 v30, v[0:3], s[6:7] offset:32
	;; [unrolled: 1-line block ×3, first 2 shown]
	s_and_saveexec_b64 s[6:7], s[0:1]
	s_cbranch_execz .LBB3_243
; %bb.236:
	v_mov_b32_e32 v12, 0
	global_load_dwordx2 v[16:17], v12, s[2:3] offset:32 sc0 sc1
	global_load_dwordx2 v[0:1], v12, s[2:3] offset:40
	v_mov_b32_e32 v14, s4
	v_mov_b32_e32 v15, s5
	s_waitcnt vmcnt(0)
	v_readfirstlane_b32 s10, v0
	v_readfirstlane_b32 s11, v1
	s_and_b64 s[10:11], s[10:11], s[4:5]
	s_mul_i32 s11, s11, 24
	s_mul_hi_u32 s12, s10, 24
	s_mul_i32 s10, s10, 24
	s_add_i32 s11, s12, s11
	v_lshl_add_u64 v[6:7], v[6:7], 0, s[10:11]
	global_store_dwordx2 v[6:7], v[16:17], off
	buffer_wbl2 sc0 sc1
	s_waitcnt vmcnt(0)
	global_atomic_cmpswap_x2 v[2:3], v12, v[14:17], s[2:3] offset:32 sc0 sc1
	s_waitcnt vmcnt(0)
	v_cmp_ne_u64_e32 vcc, v[2:3], v[16:17]
	s_and_saveexec_b64 s[10:11], vcc
	s_cbranch_execz .LBB3_239
; %bb.237:
	s_mov_b64 s[12:13], 0
.LBB3_238:                              ; =>This Inner Loop Header: Depth=1
	s_sleep 1
	global_store_dwordx2 v[6:7], v[2:3], off
	v_mov_b32_e32 v0, s4
	v_mov_b32_e32 v1, s5
	buffer_wbl2 sc0 sc1
	s_waitcnt vmcnt(0)
	global_atomic_cmpswap_x2 v[0:1], v12, v[0:3], s[2:3] offset:32 sc0 sc1
	s_waitcnt vmcnt(0)
	v_cmp_eq_u64_e32 vcc, v[0:1], v[2:3]
	s_or_b64 s[12:13], vcc, s[12:13]
	v_mov_b64_e32 v[2:3], v[0:1]
	s_andn2_b64 exec, exec, s[12:13]
	s_cbranch_execnz .LBB3_238
.LBB3_239:
	s_or_b64 exec, exec, s[10:11]
	v_mov_b32_e32 v3, 0
	global_load_dwordx2 v[0:1], v3, s[2:3] offset:16
	s_mov_b64 s[10:11], exec
	v_mbcnt_lo_u32_b32 v2, s10, 0
	v_mbcnt_hi_u32_b32 v2, s11, v2
	v_cmp_eq_u32_e32 vcc, 0, v2
	s_and_saveexec_b64 s[12:13], vcc
	s_cbranch_execz .LBB3_241
; %bb.240:
	s_bcnt1_i32_b64 s10, s[10:11]
	v_mov_b32_e32 v2, s10
	buffer_wbl2 sc0 sc1
	s_waitcnt vmcnt(0)
	global_atomic_add_x2 v[0:1], v[2:3], off offset:8 sc1
.LBB3_241:
	s_or_b64 exec, exec, s[12:13]
	s_waitcnt vmcnt(0)
	global_load_dwordx2 v[2:3], v[0:1], off offset:16
	s_waitcnt vmcnt(0)
	v_cmp_eq_u64_e32 vcc, 0, v[2:3]
	s_cbranch_vccnz .LBB3_243
; %bb.242:
	global_load_dword v0, v[0:1], off offset:24
	v_mov_b32_e32 v1, 0
	s_waitcnt vmcnt(0)
	v_readfirstlane_b32 s10, v0
	s_and_b32 m0, s10, 0xffffff
	buffer_wbl2 sc0 sc1
	global_store_dwordx2 v[2:3], v[0:1], off sc0 sc1
	s_sendmsg sendmsg(MSG_INTERRUPT)
.LBB3_243:
	s_or_b64 exec, exec, s[6:7]
	v_lshl_add_u64 v[0:1], v[8:9], 0, v[30:31]
	s_branch .LBB3_247
.LBB3_244:                              ;   in Loop: Header=BB3_247 Depth=1
	s_or_b64 exec, exec, s[6:7]
	v_readfirstlane_b32 s6, v2
	s_cmp_eq_u32 s6, 0
	s_cbranch_scc1 .LBB3_246
; %bb.245:                              ;   in Loop: Header=BB3_247 Depth=1
	s_sleep 1
	s_cbranch_execnz .LBB3_247
	s_branch .LBB3_249
.LBB3_246:
	s_branch .LBB3_249
.LBB3_247:                              ; =>This Inner Loop Header: Depth=1
	v_mov_b32_e32 v2, 1
	s_and_saveexec_b64 s[6:7], s[0:1]
	s_cbranch_execz .LBB3_244
; %bb.248:                              ;   in Loop: Header=BB3_247 Depth=1
	global_load_dword v2, v[10:11], off offset:20 sc0 sc1
	s_waitcnt vmcnt(0)
	buffer_inv sc0 sc1
	v_and_b32_e32 v2, 1, v2
	s_branch .LBB3_244
.LBB3_249:
	global_load_dwordx2 v[6:7], v[0:1], off
	s_and_saveexec_b64 s[6:7], s[0:1]
	s_cbranch_execz .LBB3_252
; %bb.250:
	v_mov_b32_e32 v10, 0
	global_load_dwordx2 v[0:1], v10, s[2:3] offset:40
	global_load_dwordx2 v[14:15], v10, s[2:3] offset:24 sc0 sc1
	global_load_dwordx2 v[2:3], v10, s[2:3]
	s_waitcnt vmcnt(2)
	v_readfirstlane_b32 s10, v0
	v_readfirstlane_b32 s11, v1
	s_add_u32 s12, s10, 1
	s_addc_u32 s13, s11, 0
	s_add_u32 s0, s12, s4
	s_addc_u32 s1, s13, s5
	s_cmp_eq_u64 s[0:1], 0
	s_cselect_b32 s1, s13, s1
	s_cselect_b32 s0, s12, s0
	s_and_b64 s[4:5], s[0:1], s[10:11]
	s_mul_i32 s5, s5, 24
	s_mul_hi_u32 s10, s4, 24
	s_mul_i32 s4, s4, 24
	s_add_i32 s5, s10, s5
	s_waitcnt vmcnt(0)
	v_lshl_add_u64 v[8:9], v[2:3], 0, s[4:5]
	v_mov_b32_e32 v12, s0
	global_store_dwordx2 v[8:9], v[14:15], off
	v_mov_b32_e32 v13, s1
	buffer_wbl2 sc0 sc1
	s_waitcnt vmcnt(0)
	global_atomic_cmpswap_x2 v[2:3], v10, v[12:15], s[2:3] offset:24 sc0 sc1
	s_mov_b64 s[4:5], 0
	s_waitcnt vmcnt(0)
	v_cmp_ne_u64_e32 vcc, v[2:3], v[14:15]
	s_and_b64 exec, exec, vcc
	s_cbranch_execz .LBB3_252
.LBB3_251:                              ; =>This Inner Loop Header: Depth=1
	s_sleep 1
	global_store_dwordx2 v[8:9], v[2:3], off
	v_mov_b32_e32 v0, s0
	v_mov_b32_e32 v1, s1
	buffer_wbl2 sc0 sc1
	s_waitcnt vmcnt(0)
	global_atomic_cmpswap_x2 v[0:1], v10, v[0:3], s[2:3] offset:24 sc0 sc1
	s_waitcnt vmcnt(0)
	v_cmp_eq_u64_e32 vcc, v[0:1], v[2:3]
	s_or_b64 s[4:5], vcc, s[4:5]
	v_mov_b64_e32 v[2:3], v[0:1]
	s_andn2_b64 exec, exec, s[4:5]
	s_cbranch_execnz .LBB3_251
.LBB3_252:
	s_or_b64 exec, exec, s[6:7]
.LBB3_253:
	v_readfirstlane_b32 s0, v38
	v_mov_b64_e32 v[8:9], 0
	s_nop 0
	v_cmp_eq_u32_e64 s[0:1], s0, v38
	s_and_saveexec_b64 s[4:5], s[0:1]
	s_cbranch_execz .LBB3_259
; %bb.254:
	s_waitcnt vmcnt(0)
	v_mov_b32_e32 v0, 0
	global_load_dwordx2 v[10:11], v0, s[2:3] offset:24 sc0 sc1
	s_waitcnt vmcnt(0)
	buffer_inv sc0 sc1
	global_load_dwordx2 v[2:3], v0, s[2:3] offset:40
	global_load_dwordx2 v[8:9], v0, s[2:3]
	s_waitcnt vmcnt(1)
	v_and_b32_e32 v1, v2, v10
	v_and_b32_e32 v2, v3, v11
	v_mul_lo_u32 v2, v2, 24
	v_mul_hi_u32 v3, v1, 24
	v_add_u32_e32 v3, v3, v2
	v_mul_lo_u32 v2, v1, 24
	s_waitcnt vmcnt(0)
	v_lshl_add_u64 v[2:3], v[8:9], 0, v[2:3]
	global_load_dwordx2 v[8:9], v[2:3], off sc0 sc1
	s_waitcnt vmcnt(0)
	global_atomic_cmpswap_x2 v[8:9], v0, v[8:11], s[2:3] offset:24 sc0 sc1
	s_waitcnt vmcnt(0)
	buffer_inv sc0 sc1
	v_cmp_ne_u64_e32 vcc, v[8:9], v[10:11]
	s_and_saveexec_b64 s[6:7], vcc
	s_cbranch_execz .LBB3_258
; %bb.255:
	s_mov_b64 s[10:11], 0
.LBB3_256:                              ; =>This Inner Loop Header: Depth=1
	s_sleep 1
	global_load_dwordx2 v[2:3], v0, s[2:3] offset:40
	global_load_dwordx2 v[12:13], v0, s[2:3]
	v_mov_b64_e32 v[10:11], v[8:9]
	s_waitcnt vmcnt(1)
	v_and_b32_e32 v2, v2, v10
	v_and_b32_e32 v1, v3, v11
	s_waitcnt vmcnt(0)
	v_mad_u64_u32 v[2:3], s[12:13], v2, 24, v[12:13]
	v_mov_b32_e32 v8, v3
	v_mad_u64_u32 v[8:9], s[12:13], v1, 24, v[8:9]
	v_mov_b32_e32 v3, v8
	global_load_dwordx2 v[8:9], v[2:3], off sc0 sc1
	s_waitcnt vmcnt(0)
	global_atomic_cmpswap_x2 v[8:9], v0, v[8:11], s[2:3] offset:24 sc0 sc1
	s_waitcnt vmcnt(0)
	buffer_inv sc0 sc1
	v_cmp_eq_u64_e32 vcc, v[8:9], v[10:11]
	s_or_b64 s[10:11], vcc, s[10:11]
	s_andn2_b64 exec, exec, s[10:11]
	s_cbranch_execnz .LBB3_256
; %bb.257:
	s_or_b64 exec, exec, s[10:11]
.LBB3_258:
	s_or_b64 exec, exec, s[6:7]
.LBB3_259:
	s_or_b64 exec, exec, s[4:5]
	v_mov_b32_e32 v31, 0
	global_load_dwordx2 v[10:11], v31, s[2:3] offset:40
	global_load_dwordx4 v[0:3], v31, s[2:3]
	v_readfirstlane_b32 s5, v9
	v_readfirstlane_b32 s4, v8
	s_mov_b64 s[6:7], exec
	s_waitcnt vmcnt(1)
	v_readfirstlane_b32 s10, v10
	v_readfirstlane_b32 s11, v11
	s_and_b64 s[10:11], s[10:11], s[4:5]
	s_mul_i32 s12, s11, 24
	s_mul_hi_u32 s13, s10, 24
	s_add_i32 s13, s13, s12
	s_mul_i32 s12, s10, 24
	s_waitcnt vmcnt(0)
	v_lshl_add_u64 v[10:11], v[0:1], 0, s[12:13]
	s_and_saveexec_b64 s[12:13], s[0:1]
	s_cbranch_execz .LBB3_261
; %bb.260:
	v_mov_b64_e32 v[12:13], s[6:7]
	v_mov_b32_e32 v14, 2
	v_mov_b32_e32 v15, 1
	global_store_dwordx4 v[10:11], v[12:15], off offset:8
.LBB3_261:
	s_or_b64 exec, exec, s[12:13]
	s_lshl_b64 s[6:7], s[10:11], 12
	v_lshl_add_u64 v[12:13], v[2:3], 0, s[6:7]
	s_movk_i32 s6, 0xff1f
	s_mov_b32 s12, 0
	v_and_or_b32 v6, v6, s6, 32
	v_mov_b32_e32 v8, 0x331
	v_mov_b32_e32 v9, v31
	v_readfirstlane_b32 s6, v12
	v_readfirstlane_b32 s7, v13
	s_mov_b32 s13, s12
	s_mov_b32 s14, s12
	;; [unrolled: 1-line block ×3, first 2 shown]
	s_nop 1
	global_store_dwordx4 v30, v[6:9], s[6:7]
	s_nop 1
	v_mov_b64_e32 v[6:7], s[12:13]
	v_mov_b64_e32 v[8:9], s[14:15]
	global_store_dwordx4 v30, v[6:9], s[6:7] offset:16
	global_store_dwordx4 v30, v[6:9], s[6:7] offset:32
	;; [unrolled: 1-line block ×3, first 2 shown]
	s_and_saveexec_b64 s[6:7], s[0:1]
	s_cbranch_execz .LBB3_269
; %bb.262:
	v_mov_b32_e32 v8, 0
	global_load_dwordx2 v[16:17], v8, s[2:3] offset:32 sc0 sc1
	global_load_dwordx2 v[2:3], v8, s[2:3] offset:40
	v_mov_b32_e32 v14, s4
	v_mov_b32_e32 v15, s5
	s_waitcnt vmcnt(0)
	v_readfirstlane_b32 s10, v2
	v_readfirstlane_b32 s11, v3
	s_and_b64 s[10:11], s[10:11], s[4:5]
	s_mul_i32 s11, s11, 24
	s_mul_hi_u32 s12, s10, 24
	s_mul_i32 s10, s10, 24
	s_add_i32 s11, s12, s11
	v_lshl_add_u64 v[6:7], v[0:1], 0, s[10:11]
	global_store_dwordx2 v[6:7], v[16:17], off
	buffer_wbl2 sc0 sc1
	s_waitcnt vmcnt(0)
	global_atomic_cmpswap_x2 v[2:3], v8, v[14:17], s[2:3] offset:32 sc0 sc1
	s_waitcnt vmcnt(0)
	v_cmp_ne_u64_e32 vcc, v[2:3], v[16:17]
	s_and_saveexec_b64 s[10:11], vcc
	s_cbranch_execz .LBB3_265
; %bb.263:
	s_mov_b64 s[12:13], 0
.LBB3_264:                              ; =>This Inner Loop Header: Depth=1
	s_sleep 1
	global_store_dwordx2 v[6:7], v[2:3], off
	v_mov_b32_e32 v0, s4
	v_mov_b32_e32 v1, s5
	buffer_wbl2 sc0 sc1
	s_waitcnt vmcnt(0)
	global_atomic_cmpswap_x2 v[0:1], v8, v[0:3], s[2:3] offset:32 sc0 sc1
	s_waitcnt vmcnt(0)
	v_cmp_eq_u64_e32 vcc, v[0:1], v[2:3]
	s_or_b64 s[12:13], vcc, s[12:13]
	v_mov_b64_e32 v[2:3], v[0:1]
	s_andn2_b64 exec, exec, s[12:13]
	s_cbranch_execnz .LBB3_264
.LBB3_265:
	s_or_b64 exec, exec, s[10:11]
	v_mov_b32_e32 v3, 0
	global_load_dwordx2 v[0:1], v3, s[2:3] offset:16
	s_mov_b64 s[10:11], exec
	v_mbcnt_lo_u32_b32 v2, s10, 0
	v_mbcnt_hi_u32_b32 v2, s11, v2
	v_cmp_eq_u32_e32 vcc, 0, v2
	s_and_saveexec_b64 s[12:13], vcc
	s_cbranch_execz .LBB3_267
; %bb.266:
	s_bcnt1_i32_b64 s10, s[10:11]
	v_mov_b32_e32 v2, s10
	buffer_wbl2 sc0 sc1
	s_waitcnt vmcnt(0)
	global_atomic_add_x2 v[0:1], v[2:3], off offset:8 sc1
.LBB3_267:
	s_or_b64 exec, exec, s[12:13]
	s_waitcnt vmcnt(0)
	global_load_dwordx2 v[2:3], v[0:1], off offset:16
	s_waitcnt vmcnt(0)
	v_cmp_eq_u64_e32 vcc, 0, v[2:3]
	s_cbranch_vccnz .LBB3_269
; %bb.268:
	global_load_dword v0, v[0:1], off offset:24
	v_mov_b32_e32 v1, 0
	s_waitcnt vmcnt(0)
	v_readfirstlane_b32 s10, v0
	s_and_b32 m0, s10, 0xffffff
	buffer_wbl2 sc0 sc1
	global_store_dwordx2 v[2:3], v[0:1], off sc0 sc1
	s_sendmsg sendmsg(MSG_INTERRUPT)
.LBB3_269:
	s_or_b64 exec, exec, s[6:7]
	v_lshl_add_u64 v[0:1], v[12:13], 0, v[30:31]
	s_branch .LBB3_273
.LBB3_270:                              ;   in Loop: Header=BB3_273 Depth=1
	s_or_b64 exec, exec, s[6:7]
	v_readfirstlane_b32 s6, v2
	s_cmp_eq_u32 s6, 0
	s_cbranch_scc1 .LBB3_272
; %bb.271:                              ;   in Loop: Header=BB3_273 Depth=1
	s_sleep 1
	s_cbranch_execnz .LBB3_273
	s_branch .LBB3_275
.LBB3_272:
	s_branch .LBB3_275
.LBB3_273:                              ; =>This Inner Loop Header: Depth=1
	v_mov_b32_e32 v2, 1
	s_and_saveexec_b64 s[6:7], s[0:1]
	s_cbranch_execz .LBB3_270
; %bb.274:                              ;   in Loop: Header=BB3_273 Depth=1
	global_load_dword v2, v[10:11], off offset:20 sc0 sc1
	s_waitcnt vmcnt(0)
	buffer_inv sc0 sc1
	v_and_b32_e32 v2, 1, v2
	s_branch .LBB3_270
.LBB3_275:
	global_load_dwordx2 v[0:1], v[0:1], off
	s_and_saveexec_b64 s[6:7], s[0:1]
	s_cbranch_execz .LBB3_278
; %bb.276:
	v_mov_b32_e32 v10, 0
	global_load_dwordx2 v[2:3], v10, s[2:3] offset:40
	global_load_dwordx2 v[14:15], v10, s[2:3] offset:24 sc0 sc1
	global_load_dwordx2 v[6:7], v10, s[2:3]
	s_waitcnt vmcnt(2)
	v_readfirstlane_b32 s10, v2
	v_readfirstlane_b32 s11, v3
	s_add_u32 s12, s10, 1
	s_addc_u32 s13, s11, 0
	s_add_u32 s0, s12, s4
	s_addc_u32 s1, s13, s5
	s_cmp_eq_u64 s[0:1], 0
	s_cselect_b32 s1, s13, s1
	s_cselect_b32 s0, s12, s0
	s_and_b64 s[4:5], s[0:1], s[10:11]
	s_mul_i32 s5, s5, 24
	s_mul_hi_u32 s10, s4, 24
	s_mul_i32 s4, s4, 24
	s_add_i32 s5, s10, s5
	s_waitcnt vmcnt(0)
	v_lshl_add_u64 v[2:3], v[6:7], 0, s[4:5]
	v_mov_b32_e32 v12, s0
	global_store_dwordx2 v[2:3], v[14:15], off
	v_mov_b32_e32 v13, s1
	buffer_wbl2 sc0 sc1
	s_waitcnt vmcnt(0)
	global_atomic_cmpswap_x2 v[8:9], v10, v[12:15], s[2:3] offset:24 sc0 sc1
	s_mov_b64 s[4:5], 0
	s_waitcnt vmcnt(0)
	v_cmp_ne_u64_e32 vcc, v[8:9], v[14:15]
	s_and_b64 exec, exec, vcc
	s_cbranch_execz .LBB3_278
.LBB3_277:                              ; =>This Inner Loop Header: Depth=1
	s_sleep 1
	global_store_dwordx2 v[2:3], v[8:9], off
	v_mov_b32_e32 v6, s0
	v_mov_b32_e32 v7, s1
	buffer_wbl2 sc0 sc1
	s_waitcnt vmcnt(0)
	global_atomic_cmpswap_x2 v[6:7], v10, v[6:9], s[2:3] offset:24 sc0 sc1
	s_waitcnt vmcnt(0)
	v_cmp_eq_u64_e32 vcc, v[6:7], v[8:9]
	s_or_b64 s[4:5], vcc, s[4:5]
	v_mov_b64_e32 v[8:9], v[6:7]
	s_andn2_b64 exec, exec, s[4:5]
	s_cbranch_execnz .LBB3_277
.LBB3_278:
	s_or_b64 exec, exec, s[6:7]
	s_mov_b64 s[0:1], 0
	v_mov_b64_e32 v[2:3], v[4:5]
.LBB3_279:                              ; =>This Inner Loop Header: Depth=1
	global_load_ubyte v6, v[2:3], off
	v_lshl_add_u64 v[2:3], v[2:3], 0, 1
	s_waitcnt vmcnt(0)
	v_cmp_eq_u16_e32 vcc, 0, v6
	s_or_b64 s[0:1], vcc, s[0:1]
	s_andn2_b64 exec, exec, s[0:1]
	s_cbranch_execnz .LBB3_279
; %bb.280:
	s_or_b64 exec, exec, s[0:1]
	s_mov_b64 s[4:5], 0
	v_cmp_ne_u64_e32 vcc, 0, v[4:5]
	s_and_saveexec_b64 s[0:1], vcc
	s_xor_b64 s[6:7], exec, s[0:1]
	s_cbranch_execz .LBB3_366
; %bb.281:
	v_sub_u32_e32 v26, v2, v4
	v_ashrrev_i32_e32 v27, 31, v26
	v_and_b32_e32 v28, 2, v0
	v_mov_b32_e32 v31, 0
	v_and_b32_e32 v0, -3, v0
	s_mov_b32 s18, 0
	s_movk_i32 s19, 0x1e0
	v_mov_b32_e32 v8, 2
	v_mov_b32_e32 v9, 1
	s_branch .LBB3_283
.LBB3_282:                              ;   in Loop: Header=BB3_283 Depth=1
	s_or_b64 exec, exec, s[12:13]
	v_sub_co_u32_e32 v26, vcc, v26, v32
	v_lshl_add_u64 v[4:5], v[4:5], 0, v[32:33]
	s_nop 0
	v_subb_co_u32_e32 v27, vcc, v27, v33, vcc
	v_cmp_eq_u64_e32 vcc, 0, v[26:27]
	s_or_b64 s[4:5], vcc, s[4:5]
	s_andn2_b64 exec, exec, s[4:5]
	s_cbranch_execz .LBB3_365
.LBB3_283:                              ; =>This Loop Header: Depth=1
                                        ;     Child Loop BB3_286 Depth 2
                                        ;     Child Loop BB3_294 Depth 2
	;; [unrolled: 1-line block ×11, first 2 shown]
	v_cmp_gt_u64_e32 vcc, 56, v[26:27]
	v_lshl_add_u64 v[12:13], v[4:5], 0, 8
	s_nop 0
	v_cndmask_b32_e32 v33, 0, v27, vcc
	v_cndmask_b32_e32 v32, 56, v26, vcc
	v_cmp_gt_u64_e32 vcc, 8, v[26:27]
	s_and_saveexec_b64 s[0:1], vcc
	s_xor_b64 s[0:1], exec, s[0:1]
	s_cbranch_execz .LBB3_289
; %bb.284:                              ;   in Loop: Header=BB3_283 Depth=1
	v_mov_b64_e32 v[2:3], 0
	v_cmp_ne_u64_e32 vcc, 0, v[26:27]
	s_and_saveexec_b64 s[10:11], vcc
	s_cbranch_execz .LBB3_288
; %bb.285:                              ;   in Loop: Header=BB3_283 Depth=1
	v_lshlrev_b64 v[6:7], 3, v[32:33]
	s_mov_b64 s[12:13], 0
	v_mov_b64_e32 v[2:3], 0
	v_mov_b64_e32 v[10:11], v[4:5]
	s_mov_b64 s[14:15], 0
.LBB3_286:                              ;   Parent Loop BB3_283 Depth=1
                                        ; =>  This Inner Loop Header: Depth=2
	global_load_ubyte v7, v[10:11], off
	v_mov_b32_e32 v13, s18
	v_lshl_add_u64 v[10:11], v[10:11], 0, 1
	s_waitcnt vmcnt(0)
	v_and_b32_e32 v12, 0xffff, v7
	v_lshlrev_b64 v[12:13], s14, v[12:13]
	s_add_u32 s14, s14, 8
	s_addc_u32 s15, s15, 0
	v_cmp_eq_u32_e32 vcc, s14, v6
	v_or_b32_e32 v3, v13, v3
	s_or_b64 s[12:13], vcc, s[12:13]
	v_or_b32_e32 v2, v12, v2
	s_andn2_b64 exec, exec, s[12:13]
	s_cbranch_execnz .LBB3_286
; %bb.287:                              ;   in Loop: Header=BB3_283 Depth=1
	s_or_b64 exec, exec, s[12:13]
.LBB3_288:                              ;   in Loop: Header=BB3_283 Depth=1
	s_or_b64 exec, exec, s[10:11]
	v_mov_b64_e32 v[12:13], v[4:5]
.LBB3_289:                              ;   in Loop: Header=BB3_283 Depth=1
	s_or_saveexec_b64 s[0:1], s[0:1]
	v_mov_b32_e32 v14, 0
	s_xor_b64 exec, exec, s[0:1]
	s_cbranch_execz .LBB3_291
; %bb.290:                              ;   in Loop: Header=BB3_283 Depth=1
	global_load_dwordx2 v[2:3], v[4:5], off
	v_add_u32_e32 v14, -8, v32
.LBB3_291:                              ;   in Loop: Header=BB3_283 Depth=1
	s_or_b64 exec, exec, s[0:1]
	v_cmp_gt_u32_e32 vcc, 8, v14
	v_lshl_add_u64 v[6:7], v[12:13], 0, 8
                                        ; implicit-def: $vgpr10_vgpr11
	s_and_saveexec_b64 s[0:1], vcc
	s_xor_b64 s[0:1], exec, s[0:1]
	s_cbranch_execz .LBB3_297
; %bb.292:                              ;   in Loop: Header=BB3_283 Depth=1
	v_cmp_ne_u32_e32 vcc, 0, v14
	v_mov_b64_e32 v[10:11], 0
	s_and_saveexec_b64 s[10:11], vcc
	s_cbranch_execz .LBB3_296
; %bb.293:                              ;   in Loop: Header=BB3_283 Depth=1
	s_mov_b64 s[12:13], 0
	v_mov_b64_e32 v[10:11], 0
	s_mov_b64 s[14:15], 0
	s_mov_b64 s[16:17], 0
.LBB3_294:                              ;   Parent Loop BB3_283 Depth=1
                                        ; =>  This Inner Loop Header: Depth=2
	v_lshl_add_u64 v[6:7], v[12:13], 0, s[16:17]
	global_load_ubyte v6, v[6:7], off
	s_add_u32 s16, s16, 1
	v_mov_b32_e32 v7, s18
	s_addc_u32 s17, s17, 0
	v_cmp_eq_u32_e32 vcc, s16, v14
	s_waitcnt vmcnt(0)
	v_and_b32_e32 v6, 0xffff, v6
	v_lshlrev_b64 v[6:7], s14, v[6:7]
	s_add_u32 s14, s14, 8
	s_addc_u32 s15, s15, 0
	v_or_b32_e32 v11, v7, v11
	s_or_b64 s[12:13], vcc, s[12:13]
	v_or_b32_e32 v10, v6, v10
	s_andn2_b64 exec, exec, s[12:13]
	s_cbranch_execnz .LBB3_294
; %bb.295:                              ;   in Loop: Header=BB3_283 Depth=1
	s_or_b64 exec, exec, s[12:13]
.LBB3_296:                              ;   in Loop: Header=BB3_283 Depth=1
	s_or_b64 exec, exec, s[10:11]
	v_mov_b64_e32 v[6:7], v[12:13]
                                        ; implicit-def: $vgpr14
.LBB3_297:                              ;   in Loop: Header=BB3_283 Depth=1
	s_or_saveexec_b64 s[0:1], s[0:1]
	v_mov_b32_e32 v15, 0
	s_xor_b64 exec, exec, s[0:1]
	s_cbranch_execz .LBB3_299
; %bb.298:                              ;   in Loop: Header=BB3_283 Depth=1
	global_load_dwordx2 v[10:11], v[12:13], off
	v_add_u32_e32 v15, -8, v14
.LBB3_299:                              ;   in Loop: Header=BB3_283 Depth=1
	s_or_b64 exec, exec, s[0:1]
	v_cmp_gt_u32_e32 vcc, 8, v15
	v_lshl_add_u64 v[16:17], v[6:7], 0, 8
	s_and_saveexec_b64 s[0:1], vcc
	s_xor_b64 s[0:1], exec, s[0:1]
	s_cbranch_execz .LBB3_305
; %bb.300:                              ;   in Loop: Header=BB3_283 Depth=1
	v_cmp_ne_u32_e32 vcc, 0, v15
	v_mov_b64_e32 v[12:13], 0
	s_and_saveexec_b64 s[10:11], vcc
	s_cbranch_execz .LBB3_304
; %bb.301:                              ;   in Loop: Header=BB3_283 Depth=1
	s_mov_b64 s[12:13], 0
	v_mov_b64_e32 v[12:13], 0
	s_mov_b64 s[14:15], 0
	s_mov_b64 s[16:17], 0
.LBB3_302:                              ;   Parent Loop BB3_283 Depth=1
                                        ; =>  This Inner Loop Header: Depth=2
	v_lshl_add_u64 v[16:17], v[6:7], 0, s[16:17]
	global_load_ubyte v14, v[16:17], off
	s_add_u32 s16, s16, 1
	v_mov_b32_e32 v17, s18
	s_addc_u32 s17, s17, 0
	v_cmp_eq_u32_e32 vcc, s16, v15
	s_waitcnt vmcnt(0)
	v_and_b32_e32 v16, 0xffff, v14
	v_lshlrev_b64 v[16:17], s14, v[16:17]
	s_add_u32 s14, s14, 8
	s_addc_u32 s15, s15, 0
	v_or_b32_e32 v13, v17, v13
	s_or_b64 s[12:13], vcc, s[12:13]
	v_or_b32_e32 v12, v16, v12
	s_andn2_b64 exec, exec, s[12:13]
	s_cbranch_execnz .LBB3_302
; %bb.303:                              ;   in Loop: Header=BB3_283 Depth=1
	s_or_b64 exec, exec, s[12:13]
.LBB3_304:                              ;   in Loop: Header=BB3_283 Depth=1
	s_or_b64 exec, exec, s[10:11]
	v_mov_b64_e32 v[16:17], v[6:7]
                                        ; implicit-def: $vgpr15
.LBB3_305:                              ;   in Loop: Header=BB3_283 Depth=1
	s_or_saveexec_b64 s[0:1], s[0:1]
	v_mov_b32_e32 v18, 0
	s_xor_b64 exec, exec, s[0:1]
	s_cbranch_execz .LBB3_307
; %bb.306:                              ;   in Loop: Header=BB3_283 Depth=1
	global_load_dwordx2 v[12:13], v[6:7], off
	v_add_u32_e32 v18, -8, v15
.LBB3_307:                              ;   in Loop: Header=BB3_283 Depth=1
	s_or_b64 exec, exec, s[0:1]
	v_cmp_gt_u32_e32 vcc, 8, v18
	v_lshl_add_u64 v[6:7], v[16:17], 0, 8
                                        ; implicit-def: $vgpr14_vgpr15
	s_and_saveexec_b64 s[0:1], vcc
	s_xor_b64 s[0:1], exec, s[0:1]
	s_cbranch_execz .LBB3_313
; %bb.308:                              ;   in Loop: Header=BB3_283 Depth=1
	v_cmp_ne_u32_e32 vcc, 0, v18
	v_mov_b64_e32 v[14:15], 0
	s_and_saveexec_b64 s[10:11], vcc
	s_cbranch_execz .LBB3_312
; %bb.309:                              ;   in Loop: Header=BB3_283 Depth=1
	s_mov_b64 s[12:13], 0
	v_mov_b64_e32 v[14:15], 0
	s_mov_b64 s[14:15], 0
	s_mov_b64 s[16:17], 0
.LBB3_310:                              ;   Parent Loop BB3_283 Depth=1
                                        ; =>  This Inner Loop Header: Depth=2
	v_lshl_add_u64 v[6:7], v[16:17], 0, s[16:17]
	global_load_ubyte v6, v[6:7], off
	s_add_u32 s16, s16, 1
	v_mov_b32_e32 v7, s18
	s_addc_u32 s17, s17, 0
	v_cmp_eq_u32_e32 vcc, s16, v18
	s_waitcnt vmcnt(0)
	v_and_b32_e32 v6, 0xffff, v6
	v_lshlrev_b64 v[6:7], s14, v[6:7]
	s_add_u32 s14, s14, 8
	s_addc_u32 s15, s15, 0
	v_or_b32_e32 v15, v7, v15
	s_or_b64 s[12:13], vcc, s[12:13]
	v_or_b32_e32 v14, v6, v14
	s_andn2_b64 exec, exec, s[12:13]
	s_cbranch_execnz .LBB3_310
; %bb.311:                              ;   in Loop: Header=BB3_283 Depth=1
	s_or_b64 exec, exec, s[12:13]
.LBB3_312:                              ;   in Loop: Header=BB3_283 Depth=1
	s_or_b64 exec, exec, s[10:11]
	v_mov_b64_e32 v[6:7], v[16:17]
                                        ; implicit-def: $vgpr18
.LBB3_313:                              ;   in Loop: Header=BB3_283 Depth=1
	s_or_saveexec_b64 s[0:1], s[0:1]
	v_mov_b32_e32 v19, 0
	s_xor_b64 exec, exec, s[0:1]
	s_cbranch_execz .LBB3_315
; %bb.314:                              ;   in Loop: Header=BB3_283 Depth=1
	global_load_dwordx2 v[14:15], v[16:17], off
	v_add_u32_e32 v19, -8, v18
.LBB3_315:                              ;   in Loop: Header=BB3_283 Depth=1
	s_or_b64 exec, exec, s[0:1]
	v_cmp_gt_u32_e32 vcc, 8, v19
	v_lshl_add_u64 v[20:21], v[6:7], 0, 8
	s_and_saveexec_b64 s[0:1], vcc
	s_xor_b64 s[0:1], exec, s[0:1]
	s_cbranch_execz .LBB3_321
; %bb.316:                              ;   in Loop: Header=BB3_283 Depth=1
	v_cmp_ne_u32_e32 vcc, 0, v19
	v_mov_b64_e32 v[16:17], 0
	s_and_saveexec_b64 s[10:11], vcc
	s_cbranch_execz .LBB3_320
; %bb.317:                              ;   in Loop: Header=BB3_283 Depth=1
	s_mov_b64 s[12:13], 0
	v_mov_b64_e32 v[16:17], 0
	s_mov_b64 s[14:15], 0
	s_mov_b64 s[16:17], 0
.LBB3_318:                              ;   Parent Loop BB3_283 Depth=1
                                        ; =>  This Inner Loop Header: Depth=2
	v_lshl_add_u64 v[20:21], v[6:7], 0, s[16:17]
	global_load_ubyte v18, v[20:21], off
	s_add_u32 s16, s16, 1
	v_mov_b32_e32 v21, s18
	s_addc_u32 s17, s17, 0
	v_cmp_eq_u32_e32 vcc, s16, v19
	s_waitcnt vmcnt(0)
	v_and_b32_e32 v20, 0xffff, v18
	v_lshlrev_b64 v[20:21], s14, v[20:21]
	s_add_u32 s14, s14, 8
	s_addc_u32 s15, s15, 0
	v_or_b32_e32 v17, v21, v17
	s_or_b64 s[12:13], vcc, s[12:13]
	v_or_b32_e32 v16, v20, v16
	s_andn2_b64 exec, exec, s[12:13]
	s_cbranch_execnz .LBB3_318
; %bb.319:                              ;   in Loop: Header=BB3_283 Depth=1
	s_or_b64 exec, exec, s[12:13]
.LBB3_320:                              ;   in Loop: Header=BB3_283 Depth=1
	s_or_b64 exec, exec, s[10:11]
	v_mov_b64_e32 v[20:21], v[6:7]
                                        ; implicit-def: $vgpr19
.LBB3_321:                              ;   in Loop: Header=BB3_283 Depth=1
	s_or_saveexec_b64 s[0:1], s[0:1]
	v_mov_b32_e32 v22, 0
	s_xor_b64 exec, exec, s[0:1]
	s_cbranch_execz .LBB3_323
; %bb.322:                              ;   in Loop: Header=BB3_283 Depth=1
	global_load_dwordx2 v[16:17], v[6:7], off
	v_add_u32_e32 v22, -8, v19
.LBB3_323:                              ;   in Loop: Header=BB3_283 Depth=1
	s_or_b64 exec, exec, s[0:1]
	v_cmp_gt_u32_e32 vcc, 8, v22
	v_lshl_add_u64 v[6:7], v[20:21], 0, 8
                                        ; implicit-def: $vgpr18_vgpr19
	s_and_saveexec_b64 s[0:1], vcc
	s_xor_b64 s[0:1], exec, s[0:1]
	s_cbranch_execz .LBB3_329
; %bb.324:                              ;   in Loop: Header=BB3_283 Depth=1
	v_cmp_ne_u32_e32 vcc, 0, v22
	v_mov_b64_e32 v[18:19], 0
	s_and_saveexec_b64 s[10:11], vcc
	s_cbranch_execz .LBB3_328
; %bb.325:                              ;   in Loop: Header=BB3_283 Depth=1
	s_mov_b64 s[12:13], 0
	v_mov_b64_e32 v[18:19], 0
	s_mov_b64 s[14:15], 0
	s_mov_b64 s[16:17], 0
.LBB3_326:                              ;   Parent Loop BB3_283 Depth=1
                                        ; =>  This Inner Loop Header: Depth=2
	v_lshl_add_u64 v[6:7], v[20:21], 0, s[16:17]
	global_load_ubyte v6, v[6:7], off
	s_add_u32 s16, s16, 1
	v_mov_b32_e32 v7, s18
	s_addc_u32 s17, s17, 0
	v_cmp_eq_u32_e32 vcc, s16, v22
	s_waitcnt vmcnt(0)
	v_and_b32_e32 v6, 0xffff, v6
	v_lshlrev_b64 v[6:7], s14, v[6:7]
	s_add_u32 s14, s14, 8
	s_addc_u32 s15, s15, 0
	v_or_b32_e32 v19, v7, v19
	s_or_b64 s[12:13], vcc, s[12:13]
	v_or_b32_e32 v18, v6, v18
	s_andn2_b64 exec, exec, s[12:13]
	s_cbranch_execnz .LBB3_326
; %bb.327:                              ;   in Loop: Header=BB3_283 Depth=1
	s_or_b64 exec, exec, s[12:13]
.LBB3_328:                              ;   in Loop: Header=BB3_283 Depth=1
	s_or_b64 exec, exec, s[10:11]
	v_mov_b64_e32 v[6:7], v[20:21]
                                        ; implicit-def: $vgpr22
.LBB3_329:                              ;   in Loop: Header=BB3_283 Depth=1
	s_or_saveexec_b64 s[0:1], s[0:1]
	v_mov_b32_e32 v23, 0
	s_xor_b64 exec, exec, s[0:1]
	s_cbranch_execz .LBB3_331
; %bb.330:                              ;   in Loop: Header=BB3_283 Depth=1
	global_load_dwordx2 v[18:19], v[20:21], off
	v_add_u32_e32 v23, -8, v22
.LBB3_331:                              ;   in Loop: Header=BB3_283 Depth=1
	s_or_b64 exec, exec, s[0:1]
	v_cmp_gt_u32_e32 vcc, 8, v23
	s_and_saveexec_b64 s[0:1], vcc
	s_xor_b64 s[0:1], exec, s[0:1]
	s_cbranch_execz .LBB3_337
; %bb.332:                              ;   in Loop: Header=BB3_283 Depth=1
	v_cmp_ne_u32_e32 vcc, 0, v23
	v_mov_b64_e32 v[20:21], 0
	s_and_saveexec_b64 s[10:11], vcc
	s_cbranch_execz .LBB3_336
; %bb.333:                              ;   in Loop: Header=BB3_283 Depth=1
	s_mov_b64 s[12:13], 0
	v_mov_b64_e32 v[20:21], 0
	s_mov_b64 s[14:15], 0
.LBB3_334:                              ;   Parent Loop BB3_283 Depth=1
                                        ; =>  This Inner Loop Header: Depth=2
	global_load_ubyte v22, v[6:7], off
	v_mov_b32_e32 v25, s18
	v_add_u32_e32 v23, -1, v23
	v_cmp_eq_u32_e32 vcc, 0, v23
	v_lshl_add_u64 v[6:7], v[6:7], 0, 1
	s_waitcnt vmcnt(0)
	v_and_b32_e32 v24, 0xffff, v22
	v_lshlrev_b64 v[24:25], s14, v[24:25]
	s_add_u32 s14, s14, 8
	s_addc_u32 s15, s15, 0
	v_or_b32_e32 v21, v25, v21
	s_or_b64 s[12:13], vcc, s[12:13]
	v_or_b32_e32 v20, v24, v20
	s_andn2_b64 exec, exec, s[12:13]
	s_cbranch_execnz .LBB3_334
; %bb.335:                              ;   in Loop: Header=BB3_283 Depth=1
	s_or_b64 exec, exec, s[12:13]
.LBB3_336:                              ;   in Loop: Header=BB3_283 Depth=1
	s_or_b64 exec, exec, s[10:11]
                                        ; implicit-def: $vgpr6_vgpr7
.LBB3_337:                              ;   in Loop: Header=BB3_283 Depth=1
	s_andn2_saveexec_b64 s[0:1], s[0:1]
	s_cbranch_execz .LBB3_339
; %bb.338:                              ;   in Loop: Header=BB3_283 Depth=1
	global_load_dwordx2 v[20:21], v[6:7], off
.LBB3_339:                              ;   in Loop: Header=BB3_283 Depth=1
	s_or_b64 exec, exec, s[0:1]
	v_readfirstlane_b32 s0, v38
	v_mov_b64_e32 v[6:7], 0
	s_nop 0
	v_cmp_eq_u32_e64 s[0:1], s0, v38
	s_and_saveexec_b64 s[10:11], s[0:1]
	s_cbranch_execz .LBB3_345
; %bb.340:                              ;   in Loop: Header=BB3_283 Depth=1
	global_load_dwordx2 v[24:25], v31, s[2:3] offset:24 sc0 sc1
	s_waitcnt vmcnt(0)
	buffer_inv sc0 sc1
	global_load_dwordx2 v[6:7], v31, s[2:3] offset:40
	global_load_dwordx2 v[22:23], v31, s[2:3]
	s_waitcnt vmcnt(1)
	v_and_b32_e32 v6, v6, v24
	v_and_b32_e32 v7, v7, v25
	v_mul_lo_u32 v7, v7, 24
	v_mul_hi_u32 v29, v6, 24
	v_add_u32_e32 v7, v29, v7
	v_mul_lo_u32 v6, v6, 24
	s_waitcnt vmcnt(0)
	v_lshl_add_u64 v[6:7], v[22:23], 0, v[6:7]
	global_load_dwordx2 v[22:23], v[6:7], off sc0 sc1
	s_waitcnt vmcnt(0)
	global_atomic_cmpswap_x2 v[6:7], v31, v[22:25], s[2:3] offset:24 sc0 sc1
	s_waitcnt vmcnt(0)
	buffer_inv sc0 sc1
	v_cmp_ne_u64_e32 vcc, v[6:7], v[24:25]
	s_and_saveexec_b64 s[12:13], vcc
	s_cbranch_execz .LBB3_344
; %bb.341:                              ;   in Loop: Header=BB3_283 Depth=1
	s_mov_b64 s[14:15], 0
.LBB3_342:                              ;   Parent Loop BB3_283 Depth=1
                                        ; =>  This Inner Loop Header: Depth=2
	s_sleep 1
	global_load_dwordx2 v[22:23], v31, s[2:3] offset:40
	global_load_dwordx2 v[34:35], v31, s[2:3]
	v_mov_b64_e32 v[24:25], v[6:7]
	s_waitcnt vmcnt(1)
	v_and_b32_e32 v6, v22, v24
	s_waitcnt vmcnt(0)
	v_mad_u64_u32 v[6:7], s[16:17], v6, 24, v[34:35]
	v_and_b32_e32 v23, v23, v25
	v_mov_b32_e32 v22, v7
	v_mad_u64_u32 v[22:23], s[16:17], v23, 24, v[22:23]
	v_mov_b32_e32 v7, v22
	global_load_dwordx2 v[22:23], v[6:7], off sc0 sc1
	s_waitcnt vmcnt(0)
	global_atomic_cmpswap_x2 v[6:7], v31, v[22:25], s[2:3] offset:24 sc0 sc1
	s_waitcnt vmcnt(0)
	buffer_inv sc0 sc1
	v_cmp_eq_u64_e32 vcc, v[6:7], v[24:25]
	s_or_b64 s[14:15], vcc, s[14:15]
	s_andn2_b64 exec, exec, s[14:15]
	s_cbranch_execnz .LBB3_342
; %bb.343:                              ;   in Loop: Header=BB3_283 Depth=1
	s_or_b64 exec, exec, s[14:15]
.LBB3_344:                              ;   in Loop: Header=BB3_283 Depth=1
	s_or_b64 exec, exec, s[12:13]
.LBB3_345:                              ;   in Loop: Header=BB3_283 Depth=1
	s_or_b64 exec, exec, s[10:11]
	global_load_dwordx2 v[34:35], v31, s[2:3] offset:40
	global_load_dwordx4 v[22:25], v31, s[2:3]
	v_readfirstlane_b32 s11, v7
	v_readfirstlane_b32 s10, v6
	s_mov_b64 s[12:13], exec
	s_waitcnt vmcnt(1)
	v_readfirstlane_b32 s14, v34
	v_readfirstlane_b32 s15, v35
	s_and_b64 s[14:15], s[14:15], s[10:11]
	s_mul_i32 s16, s15, 24
	s_mul_hi_u32 s17, s14, 24
	s_add_i32 s17, s17, s16
	s_mul_i32 s16, s14, 24
	s_waitcnt vmcnt(0)
	v_lshl_add_u64 v[34:35], v[22:23], 0, s[16:17]
	s_and_saveexec_b64 s[16:17], s[0:1]
	s_cbranch_execz .LBB3_347
; %bb.346:                              ;   in Loop: Header=BB3_283 Depth=1
	v_mov_b64_e32 v[6:7], s[12:13]
	global_store_dwordx4 v[34:35], v[6:9], off offset:8
.LBB3_347:                              ;   in Loop: Header=BB3_283 Depth=1
	s_or_b64 exec, exec, s[16:17]
	s_lshl_b64 s[12:13], s[14:15], 12
	v_cmp_gt_u64_e32 vcc, 57, v[26:27]
	v_lshl_add_u64 v[6:7], v[24:25], 0, s[12:13]
	v_and_b32_e32 v0, 0xffffff1f, v0
	v_cndmask_b32_e32 v24, 0, v28, vcc
	v_lshl_add_u32 v25, v32, 2, 28
	v_or_b32_e32 v0, v0, v24
	v_and_or_b32 v0, v25, s19, v0
	v_readfirstlane_b32 s12, v6
	v_readfirstlane_b32 s13, v7
	s_nop 4
	global_store_dwordx4 v30, v[0:3], s[12:13]
	global_store_dwordx4 v30, v[10:13], s[12:13] offset:16
	global_store_dwordx4 v30, v[14:17], s[12:13] offset:32
	;; [unrolled: 1-line block ×3, first 2 shown]
	s_and_saveexec_b64 s[12:13], s[0:1]
	s_cbranch_execz .LBB3_355
; %bb.348:                              ;   in Loop: Header=BB3_283 Depth=1
	global_load_dwordx2 v[14:15], v31, s[2:3] offset:32 sc0 sc1
	global_load_dwordx2 v[0:1], v31, s[2:3] offset:40
	v_mov_b32_e32 v12, s10
	v_mov_b32_e32 v13, s11
	s_waitcnt vmcnt(0)
	v_readfirstlane_b32 s14, v0
	v_readfirstlane_b32 s15, v1
	s_and_b64 s[14:15], s[14:15], s[10:11]
	s_mul_i32 s15, s15, 24
	s_mul_hi_u32 s16, s14, 24
	s_mul_i32 s14, s14, 24
	s_add_i32 s15, s16, s15
	v_lshl_add_u64 v[10:11], v[22:23], 0, s[14:15]
	global_store_dwordx2 v[10:11], v[14:15], off
	buffer_wbl2 sc0 sc1
	s_waitcnt vmcnt(0)
	global_atomic_cmpswap_x2 v[2:3], v31, v[12:15], s[2:3] offset:32 sc0 sc1
	s_waitcnt vmcnt(0)
	v_cmp_ne_u64_e32 vcc, v[2:3], v[14:15]
	s_and_saveexec_b64 s[14:15], vcc
	s_cbranch_execz .LBB3_351
; %bb.349:                              ;   in Loop: Header=BB3_283 Depth=1
	s_mov_b64 s[16:17], 0
.LBB3_350:                              ;   Parent Loop BB3_283 Depth=1
                                        ; =>  This Inner Loop Header: Depth=2
	s_sleep 1
	global_store_dwordx2 v[10:11], v[2:3], off
	v_mov_b32_e32 v0, s10
	v_mov_b32_e32 v1, s11
	buffer_wbl2 sc0 sc1
	s_waitcnt vmcnt(0)
	global_atomic_cmpswap_x2 v[0:1], v31, v[0:3], s[2:3] offset:32 sc0 sc1
	s_waitcnt vmcnt(0)
	v_cmp_eq_u64_e32 vcc, v[0:1], v[2:3]
	s_or_b64 s[16:17], vcc, s[16:17]
	v_mov_b64_e32 v[2:3], v[0:1]
	s_andn2_b64 exec, exec, s[16:17]
	s_cbranch_execnz .LBB3_350
.LBB3_351:                              ;   in Loop: Header=BB3_283 Depth=1
	s_or_b64 exec, exec, s[14:15]
	global_load_dwordx2 v[0:1], v31, s[2:3] offset:16
	s_mov_b64 s[16:17], exec
	v_mbcnt_lo_u32_b32 v2, s16, 0
	v_mbcnt_hi_u32_b32 v2, s17, v2
	v_cmp_eq_u32_e32 vcc, 0, v2
	s_and_saveexec_b64 s[14:15], vcc
	s_cbranch_execz .LBB3_353
; %bb.352:                              ;   in Loop: Header=BB3_283 Depth=1
	s_bcnt1_i32_b64 s16, s[16:17]
	v_mov_b32_e32 v2, s16
	v_mov_b32_e32 v3, v31
	buffer_wbl2 sc0 sc1
	s_waitcnt vmcnt(0)
	global_atomic_add_x2 v[0:1], v[2:3], off offset:8 sc1
.LBB3_353:                              ;   in Loop: Header=BB3_283 Depth=1
	s_or_b64 exec, exec, s[14:15]
	s_waitcnt vmcnt(0)
	global_load_dwordx2 v[2:3], v[0:1], off offset:16
	s_waitcnt vmcnt(0)
	v_cmp_eq_u64_e32 vcc, 0, v[2:3]
	s_cbranch_vccnz .LBB3_355
; %bb.354:                              ;   in Loop: Header=BB3_283 Depth=1
	global_load_dword v0, v[0:1], off offset:24
	v_mov_b32_e32 v1, v31
	s_waitcnt vmcnt(0)
	v_readfirstlane_b32 s14, v0
	s_and_b32 m0, s14, 0xffffff
	buffer_wbl2 sc0 sc1
	global_store_dwordx2 v[2:3], v[0:1], off sc0 sc1
	s_sendmsg sendmsg(MSG_INTERRUPT)
.LBB3_355:                              ;   in Loop: Header=BB3_283 Depth=1
	s_or_b64 exec, exec, s[12:13]
	v_lshl_add_u64 v[0:1], v[6:7], 0, v[30:31]
	s_branch .LBB3_359
.LBB3_356:                              ;   in Loop: Header=BB3_359 Depth=2
	s_or_b64 exec, exec, s[12:13]
	v_readfirstlane_b32 s12, v2
	s_cmp_eq_u32 s12, 0
	s_cbranch_scc1 .LBB3_358
; %bb.357:                              ;   in Loop: Header=BB3_359 Depth=2
	s_sleep 1
	s_cbranch_execnz .LBB3_359
	s_branch .LBB3_361
.LBB3_358:                              ;   in Loop: Header=BB3_283 Depth=1
	s_branch .LBB3_361
.LBB3_359:                              ;   Parent Loop BB3_283 Depth=1
                                        ; =>  This Inner Loop Header: Depth=2
	v_mov_b32_e32 v2, 1
	s_and_saveexec_b64 s[12:13], s[0:1]
	s_cbranch_execz .LBB3_356
; %bb.360:                              ;   in Loop: Header=BB3_359 Depth=2
	global_load_dword v2, v[34:35], off offset:20 sc0 sc1
	s_waitcnt vmcnt(0)
	buffer_inv sc0 sc1
	v_and_b32_e32 v2, 1, v2
	s_branch .LBB3_356
.LBB3_361:                              ;   in Loop: Header=BB3_283 Depth=1
	global_load_dwordx2 v[0:1], v[0:1], off
	s_and_saveexec_b64 s[12:13], s[0:1]
	s_cbranch_execz .LBB3_282
; %bb.362:                              ;   in Loop: Header=BB3_283 Depth=1
	global_load_dwordx2 v[2:3], v31, s[2:3] offset:40
	global_load_dwordx2 v[14:15], v31, s[2:3] offset:24 sc0 sc1
	global_load_dwordx2 v[6:7], v31, s[2:3]
	s_waitcnt vmcnt(2)
	v_readfirstlane_b32 s14, v2
	v_readfirstlane_b32 s15, v3
	s_add_u32 s16, s14, 1
	s_addc_u32 s17, s15, 0
	s_add_u32 s0, s16, s10
	s_addc_u32 s1, s17, s11
	s_cmp_eq_u64 s[0:1], 0
	s_cselect_b32 s1, s17, s1
	s_cselect_b32 s0, s16, s0
	s_and_b64 s[10:11], s[0:1], s[14:15]
	s_mul_i32 s11, s11, 24
	s_mul_hi_u32 s14, s10, 24
	s_mul_i32 s10, s10, 24
	s_add_i32 s11, s14, s11
	s_waitcnt vmcnt(0)
	v_lshl_add_u64 v[2:3], v[6:7], 0, s[10:11]
	v_mov_b32_e32 v12, s0
	global_store_dwordx2 v[2:3], v[14:15], off
	v_mov_b32_e32 v13, s1
	buffer_wbl2 sc0 sc1
	s_waitcnt vmcnt(0)
	global_atomic_cmpswap_x2 v[12:13], v31, v[12:15], s[2:3] offset:24 sc0 sc1
	s_waitcnt vmcnt(0)
	v_cmp_ne_u64_e32 vcc, v[12:13], v[14:15]
	s_and_b64 exec, exec, vcc
	s_cbranch_execz .LBB3_282
; %bb.363:                              ;   in Loop: Header=BB3_283 Depth=1
	s_mov_b64 s[10:11], 0
.LBB3_364:                              ;   Parent Loop BB3_283 Depth=1
                                        ; =>  This Inner Loop Header: Depth=2
	s_sleep 1
	global_store_dwordx2 v[2:3], v[12:13], off
	v_mov_b32_e32 v10, s0
	v_mov_b32_e32 v11, s1
	buffer_wbl2 sc0 sc1
	s_waitcnt vmcnt(0)
	global_atomic_cmpswap_x2 v[6:7], v31, v[10:13], s[2:3] offset:24 sc0 sc1
	s_waitcnt vmcnt(0)
	v_cmp_eq_u64_e32 vcc, v[6:7], v[12:13]
	s_or_b64 s[10:11], vcc, s[10:11]
	v_mov_b64_e32 v[12:13], v[6:7]
	s_andn2_b64 exec, exec, s[10:11]
	s_cbranch_execnz .LBB3_364
	s_branch .LBB3_282
.LBB3_365:
	s_or_b64 exec, exec, s[4:5]
                                        ; implicit-def: $vgpr30
                                        ; implicit-def: $vgpr38
.LBB3_366:
	s_andn2_saveexec_b64 s[4:5], s[6:7]
	s_cbranch_execz .LBB3_393
; %bb.367:
	v_readfirstlane_b32 s0, v38
	v_mov_b64_e32 v[2:3], 0
	s_nop 0
	v_cmp_eq_u32_e64 s[0:1], s0, v38
	s_and_saveexec_b64 s[6:7], s[0:1]
	s_cbranch_execz .LBB3_373
; %bb.368:
	v_mov_b32_e32 v4, 0
	global_load_dwordx2 v[8:9], v4, s[2:3] offset:24 sc0 sc1
	s_waitcnt vmcnt(0)
	buffer_inv sc0 sc1
	global_load_dwordx2 v[2:3], v4, s[2:3] offset:40
	global_load_dwordx2 v[6:7], v4, s[2:3]
	s_waitcnt vmcnt(1)
	v_and_b32_e32 v2, v2, v8
	v_and_b32_e32 v3, v3, v9
	v_mul_lo_u32 v3, v3, 24
	v_mul_hi_u32 v5, v2, 24
	v_add_u32_e32 v3, v5, v3
	v_mul_lo_u32 v2, v2, 24
	s_waitcnt vmcnt(0)
	v_lshl_add_u64 v[2:3], v[6:7], 0, v[2:3]
	global_load_dwordx2 v[6:7], v[2:3], off sc0 sc1
	s_waitcnt vmcnt(0)
	global_atomic_cmpswap_x2 v[2:3], v4, v[6:9], s[2:3] offset:24 sc0 sc1
	s_waitcnt vmcnt(0)
	buffer_inv sc0 sc1
	v_cmp_ne_u64_e32 vcc, v[2:3], v[8:9]
	s_and_saveexec_b64 s[10:11], vcc
	s_cbranch_execz .LBB3_372
; %bb.369:
	s_mov_b64 s[12:13], 0
.LBB3_370:                              ; =>This Inner Loop Header: Depth=1
	s_sleep 1
	global_load_dwordx2 v[6:7], v4, s[2:3] offset:40
	global_load_dwordx2 v[10:11], v4, s[2:3]
	v_mov_b64_e32 v[8:9], v[2:3]
	s_waitcnt vmcnt(1)
	v_and_b32_e32 v2, v6, v8
	s_waitcnt vmcnt(0)
	v_mad_u64_u32 v[2:3], s[14:15], v2, 24, v[10:11]
	v_and_b32_e32 v5, v7, v9
	v_mov_b32_e32 v6, v3
	v_mad_u64_u32 v[6:7], s[14:15], v5, 24, v[6:7]
	v_mov_b32_e32 v3, v6
	global_load_dwordx2 v[6:7], v[2:3], off sc0 sc1
	s_waitcnt vmcnt(0)
	global_atomic_cmpswap_x2 v[2:3], v4, v[6:9], s[2:3] offset:24 sc0 sc1
	s_waitcnt vmcnt(0)
	buffer_inv sc0 sc1
	v_cmp_eq_u64_e32 vcc, v[2:3], v[8:9]
	s_or_b64 s[12:13], vcc, s[12:13]
	s_andn2_b64 exec, exec, s[12:13]
	s_cbranch_execnz .LBB3_370
; %bb.371:
	s_or_b64 exec, exec, s[12:13]
.LBB3_372:
	s_or_b64 exec, exec, s[10:11]
.LBB3_373:
	s_or_b64 exec, exec, s[6:7]
	v_mov_b32_e32 v31, 0
	global_load_dwordx2 v[8:9], v31, s[2:3] offset:40
	global_load_dwordx4 v[4:7], v31, s[2:3]
	v_readfirstlane_b32 s7, v3
	v_readfirstlane_b32 s6, v2
	s_mov_b64 s[10:11], exec
	s_waitcnt vmcnt(1)
	v_readfirstlane_b32 s12, v8
	v_readfirstlane_b32 s13, v9
	s_and_b64 s[12:13], s[12:13], s[6:7]
	s_mul_i32 s14, s13, 24
	s_mul_hi_u32 s15, s12, 24
	s_add_i32 s15, s15, s14
	s_mul_i32 s14, s12, 24
	s_waitcnt vmcnt(0)
	v_lshl_add_u64 v[8:9], v[4:5], 0, s[14:15]
	s_and_saveexec_b64 s[14:15], s[0:1]
	s_cbranch_execz .LBB3_375
; %bb.374:
	v_mov_b64_e32 v[10:11], s[10:11]
	v_mov_b32_e32 v12, 2
	v_mov_b32_e32 v13, 1
	global_store_dwordx4 v[8:9], v[10:13], off offset:8
.LBB3_375:
	s_or_b64 exec, exec, s[14:15]
	s_lshl_b64 s[10:11], s[12:13], 12
	v_lshl_add_u64 v[6:7], v[6:7], 0, s[10:11]
	s_movk_i32 s10, 0xff1f
	s_mov_b32 s12, 0
	v_and_or_b32 v0, v0, s10, 32
	v_mov_b32_e32 v2, v31
	v_mov_b32_e32 v3, v31
	v_readfirstlane_b32 s10, v6
	v_readfirstlane_b32 s11, v7
	s_mov_b32 s13, s12
	s_mov_b32 s14, s12
	;; [unrolled: 1-line block ×3, first 2 shown]
	s_nop 1
	global_store_dwordx4 v30, v[0:3], s[10:11]
	s_nop 1
	v_mov_b64_e32 v[0:1], s[12:13]
	v_mov_b64_e32 v[2:3], s[14:15]
	global_store_dwordx4 v30, v[0:3], s[10:11] offset:16
	global_store_dwordx4 v30, v[0:3], s[10:11] offset:32
	;; [unrolled: 1-line block ×3, first 2 shown]
	s_and_saveexec_b64 s[10:11], s[0:1]
	s_cbranch_execz .LBB3_383
; %bb.376:
	v_mov_b32_e32 v10, 0
	global_load_dwordx2 v[14:15], v10, s[2:3] offset:32 sc0 sc1
	global_load_dwordx2 v[0:1], v10, s[2:3] offset:40
	v_mov_b32_e32 v12, s6
	v_mov_b32_e32 v13, s7
	s_waitcnt vmcnt(0)
	v_readfirstlane_b32 s12, v0
	v_readfirstlane_b32 s13, v1
	s_and_b64 s[12:13], s[12:13], s[6:7]
	s_mul_i32 s13, s13, 24
	s_mul_hi_u32 s14, s12, 24
	s_mul_i32 s12, s12, 24
	s_add_i32 s13, s14, s13
	v_lshl_add_u64 v[4:5], v[4:5], 0, s[12:13]
	global_store_dwordx2 v[4:5], v[14:15], off
	buffer_wbl2 sc0 sc1
	s_waitcnt vmcnt(0)
	global_atomic_cmpswap_x2 v[2:3], v10, v[12:15], s[2:3] offset:32 sc0 sc1
	s_waitcnt vmcnt(0)
	v_cmp_ne_u64_e32 vcc, v[2:3], v[14:15]
	s_and_saveexec_b64 s[12:13], vcc
	s_cbranch_execz .LBB3_379
; %bb.377:
	s_mov_b64 s[14:15], 0
.LBB3_378:                              ; =>This Inner Loop Header: Depth=1
	s_sleep 1
	global_store_dwordx2 v[4:5], v[2:3], off
	v_mov_b32_e32 v0, s6
	v_mov_b32_e32 v1, s7
	buffer_wbl2 sc0 sc1
	s_waitcnt vmcnt(0)
	global_atomic_cmpswap_x2 v[0:1], v10, v[0:3], s[2:3] offset:32 sc0 sc1
	s_waitcnt vmcnt(0)
	v_cmp_eq_u64_e32 vcc, v[0:1], v[2:3]
	s_or_b64 s[14:15], vcc, s[14:15]
	v_mov_b64_e32 v[2:3], v[0:1]
	s_andn2_b64 exec, exec, s[14:15]
	s_cbranch_execnz .LBB3_378
.LBB3_379:
	s_or_b64 exec, exec, s[12:13]
	v_mov_b32_e32 v3, 0
	global_load_dwordx2 v[0:1], v3, s[2:3] offset:16
	s_mov_b64 s[12:13], exec
	v_mbcnt_lo_u32_b32 v2, s12, 0
	v_mbcnt_hi_u32_b32 v2, s13, v2
	v_cmp_eq_u32_e32 vcc, 0, v2
	s_and_saveexec_b64 s[14:15], vcc
	s_cbranch_execz .LBB3_381
; %bb.380:
	s_bcnt1_i32_b64 s12, s[12:13]
	v_mov_b32_e32 v2, s12
	buffer_wbl2 sc0 sc1
	s_waitcnt vmcnt(0)
	global_atomic_add_x2 v[0:1], v[2:3], off offset:8 sc1
.LBB3_381:
	s_or_b64 exec, exec, s[14:15]
	s_waitcnt vmcnt(0)
	global_load_dwordx2 v[2:3], v[0:1], off offset:16
	s_waitcnt vmcnt(0)
	v_cmp_eq_u64_e32 vcc, 0, v[2:3]
	s_cbranch_vccnz .LBB3_383
; %bb.382:
	global_load_dword v0, v[0:1], off offset:24
	v_mov_b32_e32 v1, 0
	s_waitcnt vmcnt(0)
	v_readfirstlane_b32 s12, v0
	s_and_b32 m0, s12, 0xffffff
	buffer_wbl2 sc0 sc1
	global_store_dwordx2 v[2:3], v[0:1], off sc0 sc1
	s_sendmsg sendmsg(MSG_INTERRUPT)
.LBB3_383:
	s_or_b64 exec, exec, s[10:11]
	v_lshl_add_u64 v[0:1], v[6:7], 0, v[30:31]
	s_branch .LBB3_387
.LBB3_384:                              ;   in Loop: Header=BB3_387 Depth=1
	s_or_b64 exec, exec, s[10:11]
	v_readfirstlane_b32 s10, v2
	s_cmp_eq_u32 s10, 0
	s_cbranch_scc1 .LBB3_386
; %bb.385:                              ;   in Loop: Header=BB3_387 Depth=1
	s_sleep 1
	s_cbranch_execnz .LBB3_387
	s_branch .LBB3_389
.LBB3_386:
	s_branch .LBB3_389
.LBB3_387:                              ; =>This Inner Loop Header: Depth=1
	v_mov_b32_e32 v2, 1
	s_and_saveexec_b64 s[10:11], s[0:1]
	s_cbranch_execz .LBB3_384
; %bb.388:                              ;   in Loop: Header=BB3_387 Depth=1
	global_load_dword v2, v[8:9], off offset:20 sc0 sc1
	s_waitcnt vmcnt(0)
	buffer_inv sc0 sc1
	v_and_b32_e32 v2, 1, v2
	s_branch .LBB3_384
.LBB3_389:
	global_load_dwordx2 v[0:1], v[0:1], off
	s_and_saveexec_b64 s[10:11], s[0:1]
	s_cbranch_execz .LBB3_392
; %bb.390:
	v_mov_b32_e32 v8, 0
	global_load_dwordx2 v[2:3], v8, s[2:3] offset:40
	global_load_dwordx2 v[12:13], v8, s[2:3] offset:24 sc0 sc1
	global_load_dwordx2 v[4:5], v8, s[2:3]
	s_waitcnt vmcnt(2)
	v_readfirstlane_b32 s12, v2
	v_readfirstlane_b32 s13, v3
	s_add_u32 s14, s12, 1
	s_addc_u32 s15, s13, 0
	s_add_u32 s0, s14, s6
	s_addc_u32 s1, s15, s7
	s_cmp_eq_u64 s[0:1], 0
	s_cselect_b32 s1, s15, s1
	s_cselect_b32 s0, s14, s0
	s_and_b64 s[6:7], s[0:1], s[12:13]
	s_mul_i32 s7, s7, 24
	s_mul_hi_u32 s12, s6, 24
	s_mul_i32 s6, s6, 24
	s_add_i32 s7, s12, s7
	s_waitcnt vmcnt(0)
	v_lshl_add_u64 v[6:7], v[4:5], 0, s[6:7]
	v_mov_b32_e32 v10, s0
	global_store_dwordx2 v[6:7], v[12:13], off
	v_mov_b32_e32 v11, s1
	buffer_wbl2 sc0 sc1
	s_waitcnt vmcnt(0)
	global_atomic_cmpswap_x2 v[4:5], v8, v[10:13], s[2:3] offset:24 sc0 sc1
	s_mov_b64 s[6:7], 0
	s_waitcnt vmcnt(0)
	v_cmp_ne_u64_e32 vcc, v[4:5], v[12:13]
	s_and_b64 exec, exec, vcc
	s_cbranch_execz .LBB3_392
.LBB3_391:                              ; =>This Inner Loop Header: Depth=1
	s_sleep 1
	global_store_dwordx2 v[6:7], v[4:5], off
	v_mov_b32_e32 v2, s0
	v_mov_b32_e32 v3, s1
	buffer_wbl2 sc0 sc1
	s_waitcnt vmcnt(0)
	global_atomic_cmpswap_x2 v[2:3], v8, v[2:5], s[2:3] offset:24 sc0 sc1
	s_waitcnt vmcnt(0)
	v_cmp_eq_u64_e32 vcc, v[2:3], v[4:5]
	s_or_b64 s[6:7], vcc, s[6:7]
	v_mov_b64_e32 v[4:5], v[2:3]
	s_andn2_b64 exec, exec, s[6:7]
	s_cbranch_execnz .LBB3_391
.LBB3_392:
	s_or_b64 exec, exec, s[10:11]
.LBB3_393:
	s_or_b64 exec, exec, s[4:5]
	s_getpc_b64 s[0:1]
	s_add_u32 s0, s0, .str.5@rel32@lo+4
	s_addc_u32 s1, s1, .str.5@rel32@hi+12
	s_getpc_b64 s[2:3]
	s_add_u32 s2, s2, .str.5@rel32@lo+32
	s_addc_u32 s3, s3, .str.5@rel32@hi+40
	s_sub_i32 s4, s2, s0
	s_ashr_i32 s5, s4, 31
	s_getpc_b64 s[2:3]
	s_add_u32 s2, s2, __ockl_fprintf_append_string_n@rel32@lo+4
	s_addc_u32 s3, s3, __ockl_fprintf_append_string_n@rel32@hi+12
	v_mov_b32_e32 v2, s0
	v_mov_b32_e32 v3, s1
	;; [unrolled: 1-line block ×5, first 2 shown]
	s_swappc_b64 s[30:31], s[2:3]
	s_trap 2
.Lfunc_end3:
	.size	__assert_fail, .Lfunc_end3-__assert_fail
                                        ; -- End function
	.set .L__assert_fail.num_vgpr, max(41, .L__ockl_fprintf_append_string_n.num_vgpr)
	.set .L__assert_fail.num_agpr, max(0, .L__ockl_fprintf_append_string_n.num_agpr)
	.set .L__assert_fail.numbered_sgpr, max(34, .L__ockl_fprintf_append_string_n.numbered_sgpr)
	.set .L__assert_fail.num_named_barrier, max(0, .L__ockl_fprintf_append_string_n.num_named_barrier)
	.set .L__assert_fail.private_seg_size, 64+max(.L__ockl_fprintf_append_string_n.private_seg_size)
	.set .L__assert_fail.uses_vcc, or(1, .L__ockl_fprintf_append_string_n.uses_vcc)
	.set .L__assert_fail.uses_flat_scratch, or(0, .L__ockl_fprintf_append_string_n.uses_flat_scratch)
	.set .L__assert_fail.has_dyn_sized_stack, or(0, .L__ockl_fprintf_append_string_n.has_dyn_sized_stack)
	.set .L__assert_fail.has_recursion, or(0, .L__ockl_fprintf_append_string_n.has_recursion)
	.set .L__assert_fail.has_indirect_call, or(0, .L__ockl_fprintf_append_string_n.has_indirect_call)
	.section	.AMDGPU.csdata,"",@progbits
; Function info:
; codeLenInByte = 13480
; TotalNumSgprs: 40
; NumVgprs: 41
; NumAgprs: 0
; TotalNumVgprs: 41
; ScratchSize: 64
; MemoryBound: 0
	.text
	.p2align	2                               ; -- Begin function _ZN12_GLOBAL__N_17runRingIa7FuncSumIaE11ProtoSimpleILi1ELi1ELi0ELi1ELi0ELi0EELi0ELi1ELi0EEEviiP15ncclDevWorkColl
	.type	_ZN12_GLOBAL__N_17runRingIa7FuncSumIaE11ProtoSimpleILi1ELi1ELi0ELi1ELi0ELi0EELi0ELi1ELi0EEEviiP15ncclDevWorkColl,@function
_ZN12_GLOBAL__N_17runRingIa7FuncSumIaE11ProtoSimpleILi1ELi1ELi0ELi1ELi0ELi0EELi0ELi1ELi0EEEviiP15ncclDevWorkColl: ; @_ZN12_GLOBAL__N_17runRingIa7FuncSumIaE11ProtoSimpleILi1ELi1ELi0ELi1ELi0ELi0EELi0ELi1ELi0EEEviiP15ncclDevWorkColl
; %bb.0:
	s_waitcnt vmcnt(0) expcnt(0) lgkmcnt(0)
	s_mov_b32 s0, s33
	s_mov_b32 s33, s32
	s_or_saveexec_b64 s[2:3], -1
	scratch_store_dword off, v61, s33 offset:52 ; 4-byte Folded Spill
	s_mov_b64 exec, s[2:3]
	v_writelane_b32 v61, s0, 24
	s_add_i32 s32, s32, 64
	scratch_store_dword off, v40, s33 offset:48 ; 4-byte Folded Spill
	scratch_store_dword off, v41, s33 offset:44 ; 4-byte Folded Spill
	;; [unrolled: 1-line block ×12, first 2 shown]
	scratch_store_dword off, v60, s33       ; 4-byte Folded Spill
	v_writelane_b32 v61, s34, 0
	v_writelane_b32 v61, s35, 1
	;; [unrolled: 1-line block ×23, first 2 shown]
	s_nop 1
	v_writelane_b32 v61, s31, 23
	s_trap 2
	ds_read_b64 v[4:5], v0
	flat_load_ushort v9, v[2:3] offset:8
	flat_load_dwordx2 v[16:17], v[2:3]
	ds_read_b32 v6, v0
                                        ; implicit-def: $vgpr36_vgpr37
                                        ; implicit-def: $vgpr14_vgpr15
	s_waitcnt lgkmcnt(0)
	flat_load_dwordx2 v[34:35], v[4:5]
                                        ; implicit-def: $vgpr4_vgpr5
	s_waitcnt vmcnt(0)
	v_mov_b32_e32 v8, v17
	v_cmp_ne_u32_sdwa s[0:1], v6, v16 src0_sel:DWORD src1_sel:BYTE_0
	s_and_saveexec_b64 s[2:3], s[0:1]
	s_xor_b64 s[0:1], exec, s[2:3]
	s_cbranch_execz .LBB4_6
; %bb.1:
	v_not_b32_sdwa v10, v16 dst_sel:DWORD dst_unused:UNUSED_PAD src0_sel:BYTE_0
	v_cmp_ne_u32_sdwa s[2:3], v6, v16 src0_sel:DWORD src1_sel:BYTE_1
                                        ; implicit-def: $vgpr36_vgpr37
                                        ; implicit-def: $vgpr4_vgpr5
                                        ; implicit-def: $vgpr14_vgpr15
	s_and_saveexec_b64 s[4:5], s[2:3]
	s_xor_b64 s[2:3], exec, s[4:5]
	s_cbranch_execz .LBB4_3
; %bb.2:
	flat_load_dwordx4 v[18:21], v[2:3] offset:72
	flat_load_dwordx2 v[4:5], v[2:3] offset:96
	v_add_u32_e32 v6, v6, v10
	v_ashrrev_i32_e32 v7, 31, v6
                                        ; implicit-def: $vgpr10
	s_waitcnt vmcnt(0) lgkmcnt(0)
	v_mul_lo_u32 v7, v20, v7
	v_mad_u64_u32 v[14:15], s[4:5], v20, v6, v[18:19]
	v_mul_lo_u32 v6, v21, v6
	v_lshrrev_b64 v[36:37], 21, v[4:5]
	v_add3_u32 v15, v6, v15, v7
	v_mov_b64_e32 v[4:5], v[20:21]
.LBB4_3:
	s_andn2_saveexec_b64 s[2:3], s[2:3]
	s_cbranch_execz .LBB4_5
; %bb.4:
	flat_load_dwordx4 v[18:21], v[2:3] offset:72
	flat_load_dwordx4 v[4:7], v[2:3] offset:88
	s_waitcnt vmcnt(0) lgkmcnt(0)
	v_add_u32_sdwa v6, v16, v10 dst_sel:DWORD dst_unused:UNUSED_PAD src0_sel:BYTE_1 src1_sel:DWORD
	v_ashrrev_i32_e32 v10, 31, v6
	v_mul_lo_u32 v10, v20, v10
	v_mad_u64_u32 v[14:15], s[4:5], v20, v6, v[18:19]
	v_mul_lo_u32 v6, v21, v6
	v_add3_u32 v15, v6, v15, v10
	v_lshrrev_b32_e32 v36, 10, v7
.LBB4_5:
	s_or_b64 exec, exec, s[2:3]
.LBB4_6:
	s_andn2_saveexec_b64 s[0:1], s[0:1]
	s_cbranch_execz .LBB4_8
; %bb.7:
	flat_load_dwordx2 v[4:5], v[2:3] offset:72
	flat_load_dwordx2 v[36:37], v[2:3] offset:96
	v_mov_b64_e32 v[14:15], 0
.LBB4_8:
	s_or_b64 exec, exec, s[0:1]
	flat_load_dwordx4 v[10:13], v[2:3] offset:16
	s_brev_b32 s0, 34
	v_and_b32_e32 v6, 0x44000000, v16
	v_cmp_eq_u32_e64 s[16:17], s0, v6
	s_waitcnt vmcnt(0) lgkmcnt(0)
	v_bfe_u32 v37, v8, 1, 30
	v_cndmask_b32_e64 v23, v1, 64, s[16:17]
	v_cmp_ge_i32_e32 vcc, v0, v23
	s_and_saveexec_b64 s[0:1], vcc
	s_xor_b64 s[2:3], exec, s[0:1]
	s_cbranch_execz .LBB4_38
; %bb.9:
	v_cmp_ne_u64_e32 vcc, v[12:13], v[10:11]
	v_cmp_eq_u32_e64 s[0:1], v34, v37
	s_and_b64 s[4:5], vcc, s[0:1]
	s_and_saveexec_b64 s[0:1], s[4:5]
	s_cbranch_execz .LBB4_37
; %bb.10:
	v_sub_u32_e32 v25, v0, v23
	v_ashrrev_i16_e32 v0, 15, v25
	v_lshrrev_b16_e32 v0, 10, v0
	v_add_u16_e32 v0, v25, v0
	v_and_b32_e32 v2, 0xffffffc0, v0
	v_sub_u16_e32 v22, v25, v2
	v_cmp_gt_i16_e32 vcc, 1, v22
	s_mov_b64 s[6:7], 0
	s_and_saveexec_b64 s[4:5], vcc
; %bb.11:
	v_add_u32_e32 v2, v12, v14
	v_add_u32_e32 v3, v10, v14
	v_bitop3_b32 v2, v2, 15, v3 bitop3:0xc8
	v_cmp_ne_u32_e32 vcc, 0, v2
	s_and_b64 s[6:7], vcc, exec
; %bb.12:
	s_or_b64 exec, exec, s[4:5]
	v_sub_u32_e32 v24, v1, v23
	v_cndmask_b32_e64 v1, 0, 1, s[6:7]
	v_cmp_ne_u32_e32 vcc, 0, v1
	s_cbranch_vccz .LBB4_14
; %bb.13:
	s_mov_b64 s[6:7], -1
	v_mov_b64_e32 v[0:1], 0
	s_and_b64 exec, exec, s[6:7]
	s_cbranch_execnz .LBB4_29
	s_branch .LBB4_37
.LBB4_14:
	v_ashrrev_i16_e32 v2, 6, v0
	v_ashrrev_i32_e32 v0, 31, v5
	v_lshrrev_b32_e32 v0, 21, v0
	v_mov_b32_e32 v1, 0
	v_lshl_add_u64 v[0:1], v[4:5], 0, v[0:1]
	v_ashrrev_i64 v[0:1], 11, v[0:1]
	v_bfe_i32 v2, v2, 0, 16
	v_ashrrev_i32_e32 v3, 31, v2
	v_sub_co_u32_e32 v6, vcc, v0, v2
	s_mov_b64 s[6:7], 0
	s_nop 0
	v_subb_co_u32_e32 v7, vcc, v1, v3, vcc
	v_cmp_lt_i64_e32 vcc, 0, v[6:7]
	s_and_saveexec_b64 s[4:5], vcc
	s_cbranch_execz .LBB4_18
; %bb.15:
	v_mov_b32_e32 v3, 4
	v_lshlrev_b32_sdwa v3, v3, sext(v22) dst_sel:DWORD dst_unused:UNUSED_PAD src0_sel:DWORD src1_sel:WORD_0
	v_lshl_add_u32 v16, v2, 11, v3
	v_ashrrev_i16_e32 v2, 15, v24
	v_lshrrev_b16_e32 v2, 10, v2
	v_add_u16_e32 v2, v24, v2
	v_ashrrev_i16_e32 v3, 6, v2
	v_mov_b32_e32 v8, 11
	v_ashrrev_i32_e32 v17, 31, v16
	v_bfe_i32 v2, v3, 0, 16
	v_lshlrev_b32_sdwa v8, v8, sext(v3) dst_sel:DWORD dst_unused:UNUSED_PAD src0_sel:DWORD src1_sel:WORD_0
	v_ashrrev_i32_e32 v3, 31, v2
	v_ashrrev_i32_e32 v9, 31, v8
	v_lshl_add_u64 v[16:17], v[14:15], 0, v[16:17]
.LBB4_16:                               ; =>This Inner Loop Header: Depth=1
	v_lshl_add_u64 v[30:31], v[12:13], 0, v[16:17]
	global_load_dwordx4 v[18:21], v[30:31], off nt
	global_load_dwordx4 v[26:29], v[30:31], off offset:1024 nt
	v_sub_co_u32_e32 v6, vcc, v6, v2
	v_lshl_add_u64 v[30:31], v[10:11], 0, v[16:17]
	s_nop 0
	v_subb_co_u32_e32 v7, vcc, v7, v3, vcc
	v_cmp_gt_i64_e32 vcc, 1, v[6:7]
	v_lshl_add_u64 v[16:17], v[16:17], 0, v[8:9]
	s_or_b64 s[6:7], vcc, s[6:7]
	s_waitcnt vmcnt(1)
	global_store_dwordx4 v[30:31], v[18:21], off
	s_waitcnt vmcnt(1)
	global_store_dwordx4 v[30:31], v[26:29], off offset:1024
	s_andn2_b64 exec, exec, s[6:7]
	s_cbranch_execnz .LBB4_16
; %bb.17:
	s_or_b64 exec, exec, s[6:7]
.LBB4_18:
	s_or_b64 exec, exec, s[4:5]
	v_lshlrev_b64 v[8:9], 11, v[0:1]
	v_cmp_ne_u64_e32 vcc, v[4:5], v[8:9]
	s_mov_b64 s[6:7], 0
	v_mov_b64_e32 v[0:1], 0
                                        ; implicit-def: $vgpr2_vgpr3
                                        ; implicit-def: $vgpr25
	s_and_saveexec_b64 s[4:5], vcc
	s_cbranch_execz .LBB4_28
; %bb.19:
	v_sub_co_u32_e32 v16, vcc, v4, v8
	v_mov_b32_e32 v21, 0
	s_nop 0
	v_subb_co_u32_e32 v17, vcc, v5, v9, vcc
	v_ashrrev_i32_e32 v0, 31, v17
	v_lshrrev_b32_e32 v20, 22, v0
	v_lshl_add_u64 v[2:3], v[16:17], 0, v[20:21]
	v_ashrrev_i64 v[18:19], 10, v[2:3]
	v_and_b32_e32 v2, 0xfffffc00, v2
	v_lshl_add_u64 v[0:1], v[2:3], 0, v[8:9]
	v_sub_co_u32_e32 v2, vcc, v16, v2
	s_nop 1
	v_subb_co_u32_e32 v3, vcc, v17, v3, vcc
	v_cmp_lt_i64_e32 vcc, 15, v[2:3]
	s_and_saveexec_b64 s[6:7], vcc
; %bb.20:
	v_and_b32_e32 v20, 15, v4
	v_sub_co_u32_e32 v2, vcc, v2, v20
	v_lshl_add_u64 v[18:19], v[18:19], 0, 1
	s_nop 0
	v_subbrev_co_u32_e32 v3, vcc, 0, v3, vcc
	v_lshl_add_u64 v[0:1], v[2:3], 0, v[0:1]
	v_mov_b64_e32 v[2:3], v[20:21]
; %bb.21:
	s_or_b64 exec, exec, s[6:7]
	v_lshlrev_b32_e32 v4, 6, v6
	v_sub_u32_sdwa v4, sext(v22), v4 dst_sel:DWORD dst_unused:UNUSED_PAD src0_sel:WORD_0 src1_sel:DWORD
	v_ashrrev_i32_e32 v5, 31, v4
	v_lshrrev_b32_e32 v5, 26, v5
	v_add_u32_e32 v5, v4, v5
	v_ashrrev_i32_e32 v23, 6, v5
	v_and_b32_e32 v5, 0xffffffc0, v5
	v_sub_u32_e32 v22, v4, v5
	v_lshlrev_b32_e32 v4, 4, v22
	v_lshl_add_u32 v20, v23, 10, v4
	v_ashrrev_i32_e32 v21, 31, v20
	v_sub_co_u32_e32 v6, vcc, v16, v20
	v_ashrrev_i32_e32 v5, 31, v23
	s_nop 0
	v_subb_co_u32_e32 v7, vcc, v17, v21, vcc
	v_sub_co_u32_e32 v4, vcc, v18, v23
	s_nop 1
	v_subb_co_u32_e32 v5, vcc, v19, v5, vcc
	v_cmp_lt_i64_e32 vcc, 15, v[6:7]
	s_and_saveexec_b64 s[6:7], vcc
	s_cbranch_execz .LBB4_25
; %bb.22:
	v_ashrrev_i16_e32 v16, 15, v24
	v_lshrrev_b16_e32 v16, 10, v16
	v_add_u16_e32 v16, v24, v16
	v_ashrrev_i16_e32 v17, 6, v16
	v_mov_b32_e32 v18, 10
	v_bfe_i32 v16, v17, 0, 16
	v_lshlrev_b32_sdwa v18, v18, sext(v17) dst_sel:DWORD dst_unused:UNUSED_PAD src0_sel:DWORD src1_sel:WORD_0
	v_lshl_add_u64 v[8:9], v[14:15], 0, v[8:9]
	v_ashrrev_i32_e32 v19, 31, v18
	v_ashrrev_i32_e32 v17, 31, v16
	v_lshl_add_u64 v[8:9], v[8:9], 0, v[20:21]
	s_mov_b64 s[10:11], 0
.LBB4_23:                               ; =>This Inner Loop Header: Depth=1
	v_lshl_add_u64 v[20:21], v[12:13], 0, v[8:9]
	global_load_dwordx4 v[26:29], v[20:21], off nt
	v_sub_co_u32_e32 v6, vcc, v6, v18
	v_lshl_add_u64 v[20:21], v[10:11], 0, v[8:9]
	s_nop 0
	v_subb_co_u32_e32 v7, vcc, v7, v19, vcc
	v_sub_co_u32_e32 v4, vcc, v4, v16
	v_lshl_add_u64 v[8:9], v[8:9], 0, v[18:19]
	s_nop 0
	v_subb_co_u32_e32 v5, vcc, v5, v17, vcc
	v_cmp_gt_i64_e32 vcc, 16, v[6:7]
	s_or_b64 s[10:11], vcc, s[10:11]
	s_waitcnt vmcnt(0)
	global_store_dwordx4 v[20:21], v[26:29], off
	s_andn2_b64 exec, exec, s[10:11]
	s_cbranch_execnz .LBB4_23
; %bb.24:
	s_or_b64 exec, exec, s[10:11]
.LBB4_25:
	s_or_b64 exec, exec, s[6:7]
	v_cmp_lt_i64_e32 vcc, 0, v[4:5]
	s_and_saveexec_b64 s[6:7], vcc
; %bb.26:
	v_ashrrev_i16_e32 v5, 15, v24
	v_lshrrev_b16_e32 v5, 10, v5
	v_add_u16_e32 v5, v24, v5
	v_ashrrev_i16_e32 v5, 6, v5
	v_bfe_i32 v5, v5, 0, 16
	v_sub_co_u32_e32 v4, vcc, v4, v5
; %bb.27:
	s_or_b64 exec, exec, s[6:7]
	v_lshlrev_b32_e32 v4, 6, v4
	v_cmp_ne_u64_e32 vcc, 0, v[2:3]
	v_sub_u32_e32 v25, v22, v4
	s_and_b64 s[6:7], vcc, exec
.LBB4_28:
	s_or_b64 exec, exec, s[4:5]
	v_mov_b64_e32 v[4:5], v[2:3]
	s_and_b64 exec, exec, s[6:7]
	s_cbranch_execz .LBB4_37
.LBB4_29:
	v_ashrrev_i32_e32 v2, 31, v25
	v_lshrrev_b32_e32 v2, 26, v2
	v_add_u32_e32 v8, v25, v2
	v_ashrrev_i32_e32 v2, 31, v5
	v_lshrrev_b32_e32 v2, 23, v2
	v_mov_b32_e32 v3, 0
	v_lshl_add_u64 v[2:3], v[4:5], 0, v[2:3]
	v_ashrrev_i32_e32 v26, 6, v8
	v_ashrrev_i64 v[6:7], 9, v[2:3]
	v_ashrrev_i32_e32 v3, 31, v26
	v_sub_co_u32_e32 v2, vcc, v6, v26
	s_mov_b64 s[6:7], 0
	s_nop 0
	v_subb_co_u32_e32 v3, vcc, v7, v3, vcc
	v_cmp_lt_i64_e32 vcc, 0, v[2:3]
	s_and_saveexec_b64 s[4:5], vcc
	s_cbranch_execz .LBB4_33
; %bb.30:
	v_ashrrev_i16_e32 v16, 15, v24
	v_lshrrev_b16_e32 v16, 10, v16
	v_and_b32_e32 v8, 0xffffffc0, v8
	v_add_u16_e32 v16, v24, v16
	v_sub_u32_e32 v8, v25, v8
	v_ashrrev_i16_e32 v17, 6, v16
	v_mov_b32_e32 v18, 9
	v_lshl_add_u32 v8, v26, 9, v8
	v_bfe_i32 v16, v17, 0, 16
	v_lshlrev_b32_sdwa v18, v18, sext(v17) dst_sel:DWORD dst_unused:UNUSED_PAD src0_sel:DWORD src1_sel:WORD_0
	v_lshl_add_u64 v[22:23], v[14:15], 0, v[0:1]
	v_ashrrev_i32_e32 v9, 31, v8
	v_ashrrev_i32_e32 v17, 31, v16
	;; [unrolled: 1-line block ×3, first 2 shown]
	v_lshl_add_u64 v[20:21], v[22:23], 0, v[12:13]
	v_lshl_add_u64 v[22:23], v[22:23], 0, v[10:11]
.LBB4_31:                               ; =>This Inner Loop Header: Depth=1
	v_lshl_add_u64 v[28:29], v[8:9], 0, v[20:21]
	flat_load_ubyte v27, v[28:29] nt
	flat_load_ubyte v30, v[28:29] offset:64 nt
	flat_load_ubyte v31, v[28:29] offset:128 nt
	;; [unrolled: 1-line block ×7, first 2 shown]
	v_sub_co_u32_e32 v2, vcc, v2, v16
	v_lshl_add_u64 v[28:29], v[8:9], 0, v[22:23]
	s_nop 0
	v_subb_co_u32_e32 v3, vcc, v3, v17, vcc
	v_cmp_gt_i64_e32 vcc, 1, v[2:3]
	v_lshl_add_u64 v[20:21], v[20:21], 0, v[18:19]
	v_lshl_add_u64 v[22:23], v[22:23], 0, v[18:19]
	s_or_b64 s[6:7], vcc, s[6:7]
	s_waitcnt vmcnt(0) lgkmcnt(0)
	flat_store_byte v[28:29], v27 nt
	flat_store_byte v[28:29], v30 offset:64 nt
	flat_store_byte v[28:29], v31 offset:128 nt
	;; [unrolled: 1-line block ×7, first 2 shown]
	s_andn2_b64 exec, exec, s[6:7]
	s_cbranch_execnz .LBB4_31
; %bb.32:
	s_or_b64 exec, exec, s[6:7]
.LBB4_33:
	s_or_b64 exec, exec, s[4:5]
	v_lshlrev_b64 v[6:7], 9, v[6:7]
	v_cmp_ne_u64_e32 vcc, v[4:5], v[6:7]
	s_and_b64 exec, exec, vcc
	s_cbranch_execz .LBB4_37
; %bb.34:
	v_lshlrev_b32_e32 v3, 6, v26
	v_sub_u32_e32 v3, v25, v3
	v_lshlrev_b32_e32 v2, 6, v2
	v_sub_u32_e32 v8, v3, v2
	v_ashrrev_i32_e32 v9, 31, v8
	v_lshl_add_u64 v[2:3], v[6:7], 0, v[8:9]
	v_sub_co_u32_e32 v2, vcc, v4, v2
	s_mov_b64 s[4:5], 0
	s_nop 0
	v_subb_co_u32_e32 v3, vcc, v5, v3, vcc
	v_cmp_lt_i64_e32 vcc, 0, v[2:3]
	s_and_b64 exec, exec, vcc
	s_cbranch_execz .LBB4_37
; %bb.35:
	v_ashrrev_i16_e32 v4, 15, v24
	v_lshrrev_b16_e32 v4, 10, v4
	v_add_u16_e32 v4, v24, v4
	v_ashrrev_i16_e32 v4, 6, v4
	v_mov_b32_e32 v5, 6
	v_lshl_add_u64 v[0:1], v[14:15], 0, v[0:1]
	v_lshlrev_b32_sdwa v4, v5, sext(v4) dst_sel:DWORD dst_unused:UNUSED_PAD src0_sel:DWORD src1_sel:WORD_0
	v_lshl_add_u64 v[0:1], v[0:1], 0, v[6:7]
	v_ashrrev_i32_e32 v5, 31, v4
	v_lshl_add_u64 v[0:1], v[0:1], 0, v[8:9]
.LBB4_36:                               ; =>This Inner Loop Header: Depth=1
	v_lshl_add_u64 v[6:7], v[12:13], 0, v[0:1]
	flat_load_ubyte v8, v[6:7] nt
	v_sub_co_u32_e32 v2, vcc, v2, v4
	v_lshl_add_u64 v[6:7], v[10:11], 0, v[0:1]
	s_nop 0
	v_subb_co_u32_e32 v3, vcc, v3, v5, vcc
	v_cmp_gt_i64_e32 vcc, 1, v[2:3]
	v_lshl_add_u64 v[0:1], v[0:1], 0, v[4:5]
	s_or_b64 s[4:5], vcc, s[4:5]
	s_waitcnt vmcnt(0) lgkmcnt(0)
	flat_store_byte v[6:7], v8 nt
	s_andn2_b64 exec, exec, s[4:5]
	s_cbranch_execnz .LBB4_36
.LBB4_37:
	s_or_b64 exec, exec, s[0:1]
                                        ; implicit-def: $vgpr36_vgpr37
                                        ; implicit-def: $vgpr34_vgpr35
                                        ; implicit-def: $vgpr14_vgpr15
                                        ; implicit-def: $vgpr4_vgpr5
                                        ; implicit-def: $vgpr23
                                        ; implicit-def: $vgpr0
                                        ; implicit-def: $vgpr31
                                        ; implicit-def: $vgpr12_vgpr13
                                        ; implicit-def: $vgpr8_vgpr9
                                        ; implicit-def: $vgpr2_vgpr3
                                        ; implicit-def: $vgpr37
.LBB4_38:
	s_andn2_saveexec_b64 s[46:47], s[2:3]
	s_cbranch_execz .LBB4_1041
; %bb.39:
	s_trap 2
	ds_read_b64 v[6:7], v0
	s_waitcnt lgkmcnt(0)
	v_cmp_ne_u32_e32 vcc, -1, v6
	s_nop 1
	v_cndmask_b32_e64 v80, 0, 1, vcc
	v_cmp_ne_u32_e32 vcc, -1, v7
	s_nop 1
	v_addc_co_u32_e64 v1, s[0:1], 0, v80, vcc
	v_lshlrev_b32_e32 v6, 1, v1
	v_cmp_le_u32_e64 s[0:1], v6, v23
	s_and_saveexec_b64 s[2:3], s[0:1]
	s_xor_b64 s[56:57], exec, s[2:3]
	s_cbranch_execz .LBB4_1038
; %bb.40:
	flat_load_dwordx2 v[26:27], v[2:3] offset:104
	s_trap 2
	s_load_dword s0, s[8:9], 0x0
	v_mov_b32_e32 v6, 0
	v_mov_b32_e32 v112, 4
	s_waitcnt lgkmcnt(0)
	s_cmp_lt_u32 s12, s0
	s_cselect_b32 s0, 12, 18
	s_add_u32 s0, s8, s0
	s_addc_u32 s1, s9, 0
	global_load_ushort v30, v6, s[0:1]
	ds_read_b32 v6, v0
	v_cmp_ge_i32_e64 s[0:1], v0, v80
	s_waitcnt lgkmcnt(0)
	v_readfirstlane_b32 s18, v6
	s_and_saveexec_b64 s[2:3], s[0:1]
	s_cbranch_execz .LBB4_50
; %bb.41:
	v_cmp_ge_u32_e64 s[0:1], v0, v1
                                        ; implicit-def: $vgpr112
	s_and_saveexec_b64 s[4:5], s[0:1]
	s_xor_b64 s[0:1], exec, s[4:5]
	s_cbranch_execz .LBB4_47
; %bb.42:
	v_cndmask_b32_e64 v6, 0, 1, vcc
	v_sub_u32_e32 v6, v23, v6
	v_cmp_ge_u32_e32 vcc, v0, v6
	s_and_saveexec_b64 s[4:5], vcc
	s_xor_b64 s[4:5], exec, s[4:5]
; %bb.43:
                                        ; implicit-def: $vgpr1
; %bb.44:
	s_or_saveexec_b64 s[4:5], s[4:5]
	v_mov_b32_e32 v112, 16
	s_xor_b64 exec, exec, s[4:5]
; %bb.45:
	v_sub_u32_e32 v1, v23, v1
	v_cmp_lt_i32_e32 vcc, v0, v1
	s_nop 1
	v_cndmask_b32_e64 v112, 32, 0, vcc
; %bb.46:
	s_or_b64 exec, exec, s[4:5]
.LBB4_47:
	s_andn2_saveexec_b64 s[0:1], s[0:1]
; %bb.48:
	v_mov_b32_e32 v112, 8
; %bb.49:
	s_or_b64 exec, exec, s[0:1]
.LBB4_50:
	s_or_b64 exec, exec, s[2:3]
	v_and_b32_e32 v1, 36, v112
	v_cmp_ne_u32_e32 vcc, 0, v1
	v_mov_b32_e32 v38, -1
	s_and_saveexec_b64 s[0:1], vcc
	s_cbranch_execz .LBB4_52
; %bb.51:
	s_trap 2
	ds_read_b32 v38, v0
.LBB4_52:
	s_or_b64 exec, exec, s[0:1]
	v_and_b32_e32 v1, 24, v112
	v_cmp_ne_u32_e64 s[0:1], 0, v1
	s_and_saveexec_b64 s[2:3], s[0:1]
	s_cbranch_execz .LBB4_54
; %bb.53:
	s_trap 2
	s_waitcnt lgkmcnt(0)
	ds_read_b32 v38, v0
.LBB4_54:
	s_or_b64 exec, exec, s[2:3]
	v_lshrrev_b64 v[6:7], 31, v[8:9]
	v_and_b32_e32 v1, 3, v6
	v_mov_b64_e32 v[18:19], 0
	v_mov_b64_e32 v[6:7], 0
                                        ; implicit-def: $vgpr16_vgpr17
                                        ; implicit-def: $vgpr22
                                        ; implicit-def: $vgpr24_vgpr25
                                        ; implicit-def: $vgpr32_vgpr33
                                        ; implicit-def: $vgpr20_vgpr21
	s_and_saveexec_b64 s[0:1], vcc
	s_cbranch_execz .LBB4_64
; %bb.55:
	s_trap 2
	ds_read_b64 v[6:7], v0
	s_waitcnt lgkmcnt(0)
	v_ashrrev_i32_e32 v39, 31, v38
	v_and_b32_e32 v8, 0xffff, v1
	s_movk_i32 s2, 0xa8
                                        ; implicit-def: $vgpr16_vgpr17
	v_lshl_add_u64 v[6:7], v[38:39], 3, v[6:7]
	flat_load_dwordx2 v[6:7], v[6:7]
	s_waitcnt vmcnt(0) lgkmcnt(0)
	v_mad_u64_u32 v[28:29], s[2:3], v8, s2, v[6:7]
	flat_load_dword v6, v[28:29] offset:640
	s_waitcnt vmcnt(0) lgkmcnt(0)
	v_cmp_eq_u32_e32 vcc, 1, v6
	s_and_saveexec_b64 s[2:3], vcc
	s_cbranch_execz .LBB4_57
; %bb.56:
	flat_load_dwordx2 v[16:17], v[28:29] offset:648
	v_or_b32_e32 v112, 0x2000, v112
	s_waitcnt vmcnt(0) lgkmcnt(0)
	flat_load_dwordx2 v[6:7], v[16:17]
	s_trap 2
	s_waitcnt vmcnt(0) lgkmcnt(0)
	ds_write_b64 v0, v[6:7]
	flat_load_dwordx2 v[6:7], v[16:17] offset:8
	s_waitcnt vmcnt(0) lgkmcnt(0)
	ds_write_b64 v0, v[6:7]
	flat_load_dwordx2 v[6:7], v[16:17] offset:16
	s_waitcnt vmcnt(0) lgkmcnt(0)
	ds_write_b64 v0, v[6:7]
.LBB4_57:
	s_or_b64 exec, exec, s[2:3]
	flat_load_dwordx2 v[8:9], v[28:29] offset:608
	v_and_b32_e32 v6, 32, v112
	v_cmp_ne_u32_e32 vcc, 0, v6
                                        ; implicit-def: $vgpr20_vgpr21
	s_and_saveexec_b64 s[2:3], vcc
	s_cbranch_execz .LBB4_59
; %bb.58:
	flat_load_dwordx2 v[20:21], v[28:29] offset:560
	s_waitcnt vmcnt(0) lgkmcnt(0)
	flat_store_dwordx2 v[20:21], v[8:9] sc0 sc1
.LBB4_59:
	s_or_b64 exec, exec, s[2:3]
	s_mov_b64 s[2:3], 0x1f8
	v_and_b32_e32 v6, 4, v112
	v_lshl_add_u64 v[18:19], v[28:29], 0, s[2:3]
	v_cmp_ne_u32_e32 vcc, 0, v6
	v_mov_b64_e32 v[6:7], 0
                                        ; implicit-def: $vgpr22
                                        ; implicit-def: $vgpr24_vgpr25
                                        ; implicit-def: $vgpr32_vgpr33
	s_and_saveexec_b64 s[2:3], vcc
	s_cbranch_execz .LBB4_63
; %bb.60:
	v_and_b32_e32 v6, 0x800, v112
	v_cmp_eq_u32_e32 vcc, 0, v6
	s_and_saveexec_b64 s[4:5], vcc
	s_cbranch_execz .LBB4_62
; %bb.61:
	s_trap 2
	ds_write_b64 v0, v[18:19]
.LBB4_62:
	s_or_b64 exec, exec, s[4:5]
	flat_load_dwordx2 v[20:21], v[28:29] offset:552
	s_waitcnt vmcnt(0) lgkmcnt(0)
	flat_load_dwordx2 v[32:33], v[20:21] sc0 sc1
	flat_load_dwordx2 v[6:7], v[28:29] offset:600
	flat_load_dword v22, v[28:29] offset:576
	flat_load_dwordx2 v[24:25], v[28:29] offset:520
	v_or_b32_e32 v28, 0x100, v112
	s_waitcnt vmcnt(0) lgkmcnt(0)
	v_cmp_eq_u64_e32 vcc, 0, v[6:7]
	s_nop 1
	v_cndmask_b32_e32 v112, v28, v112, vcc
.LBB4_63:
	s_or_b64 exec, exec, s[2:3]
.LBB4_64:
	s_or_b64 exec, exec, s[0:1]
	v_and_b32_e32 v28, 24, v112
	v_cmp_ne_u32_e32 vcc, 0, v28
                                        ; implicit-def: $vgpr28_vgpr29
	s_and_saveexec_b64 s[0:1], vcc
	s_cbranch_execz .LBB4_72
; %bb.65:
	s_trap 2
	ds_read_b64 v[6:7], v0
	s_waitcnt lgkmcnt(0)
	v_ashrrev_i32_e32 v39, 31, v38
	v_and_b32_e32 v1, 0xffff, v1
	s_movk_i32 s2, 0xa8
                                        ; implicit-def: $vgpr28_vgpr29
	v_lshl_add_u64 v[6:7], v[38:39], 3, v[6:7]
	flat_load_dwordx2 v[6:7], v[6:7]
	s_waitcnt vmcnt(0) lgkmcnt(0)
	v_mad_u64_u32 v[18:19], s[2:3], v1, s2, v[6:7]
	flat_load_dwordx4 v[6:9], v[18:19] offset:96
	v_or_b32_e32 v1, 0x100, v112
	s_waitcnt vmcnt(0) lgkmcnt(0)
	v_cmp_eq_u64_e32 vcc, 0, v[6:7]
	s_nop 1
	v_cndmask_b32_e32 v112, v1, v112, vcc
	v_and_b32_e32 v1, 16, v112
	v_cmp_ne_u32_e32 vcc, 0, v1
	s_and_saveexec_b64 s[2:3], vcc
	s_cbranch_execz .LBB4_67
; %bb.66:
	flat_load_dwordx2 v[20:21], v[18:19] offset:48
	flat_load_dwordx2 v[28:29], v[18:19] offset:120
	;; [unrolled: 1-line block ×3, first 2 shown]
.LBB4_67:
	s_or_b64 exec, exec, s[2:3]
	v_and_b32_e32 v1, 8, v112
	v_cmp_ne_u32_e32 vcc, 0, v1
	s_and_saveexec_b64 s[2:3], vcc
	s_cbranch_execz .LBB4_71
; %bb.68:
	v_and_b32_e32 v1, 0x800, v112
	v_cmp_eq_u32_e32 vcc, 0, v1
	s_and_saveexec_b64 s[4:5], vcc
	s_cbranch_execz .LBB4_70
; %bb.69:
	s_trap 2
	ds_write_b64 v0, v[18:19]
.LBB4_70:
	s_or_b64 exec, exec, s[4:5]
	s_waitcnt vmcnt(0) lgkmcnt(0)
	flat_load_dwordx2 v[20:21], v[18:19] offset:56
	s_waitcnt vmcnt(0) lgkmcnt(0)
	flat_load_dwordx2 v[32:33], v[20:21] sc0 sc1
	flat_load_dword v22, v[18:19] offset:72
	flat_load_dwordx2 v[24:25], v[18:19] offset:16
.LBB4_71:
	s_or_b64 exec, exec, s[2:3]
.LBB4_72:
	s_or_b64 exec, exec, s[0:1]
	v_cmp_eq_u32_e64 s[0:1], 0, v0
	s_and_saveexec_b64 s[2:3], s[0:1]
	s_cbranch_execz .LBB4_74
; %bb.73:
	s_waitcnt lgkmcnt(0)
	flat_load_dwordx2 v[38:39], v[2:3] offset:32
	v_mov_b32_e32 v48, v12
	v_mov_b32_e32 v49, v13
	v_mov_b32_e32 v50, v10
	v_mov_b32_e32 v51, v11
	ds_write2_b64 v0, v[48:49], v[50:51] offset1:1
	s_trap 2
	s_waitcnt vmcnt(0) lgkmcnt(0)
	ds_write_b64 v0, v[38:39]
	ds_write_b64 v0, v[26:27]
.LBB4_74:
	s_or_b64 exec, exec, s[2:3]
	s_waitcnt vmcnt(0)
	v_mov_b64_e32 v[26:27], 0
	v_cmp_ne_u64_e32 vcc, 0, v[4:5]
	s_trap 2
	s_and_saveexec_b64 s[58:59], vcc
	s_cbranch_execz .LBB4_1004
; %bb.75:
	flat_load_dword v2, v[2:3] offset:4
	v_lshlrev_b32_e32 v48, 9, v36
	v_cmp_ne_u32_e64 s[2:3], v34, v37
	v_cmp_ne_u32_e64 s[4:5], v35, v37
	v_ashrrev_i32_e32 v37, 31, v0
	v_cvt_f64_u32_e32 v[50:51], 0
	v_and_b32_e32 v48, 0x3ffffe00, v48
	v_lshrrev_b32_e32 v53, 26, v37
	s_ashr_i32 s19, s18, 31
	v_lshrrev_b32_e32 v34, 6, v23
	v_cmp_ne_u64_e32 vcc, v[12:13], v[10:11]
	v_ldexp_f64 v[10:11], v[50:51], 32
	v_cvt_f64_u32_e32 v[12:13], v48
	v_add_u32_e32 v65, v0, v53
	v_and_b32_e32 v113, 0x3fc0, v23
	s_lshr_b32 s19, s19, 24
	v_lshlrev_b32_e32 v117, 10, v34
	v_add_f64 v[66:67], v[10:11], v[12:13]
	v_ashrrev_i32_e32 v118, 6, v65
	v_and_b32_e32 v10, 0xffffffc0, v65
	s_xor_b64 s[20:21], s[16:17], -1
	v_subrev_u32_e32 v52, 64, v113
	s_add_i32 s18, s18, s19
	v_add_u32_e32 v64, 0xfffffc00, v117
	v_sub_u32_e32 v119, v0, v10
	v_lshlrev_b32_e32 v10, 11, v118
	v_mov_b32_e32 v3, 0
	v_and_b32_e32 v35, 63, v31
	v_lshlrev_b32_e32 v36, 4, v0
	s_mov_b64 s[62:63], 0x400
	s_and_b64 s[76:77], s[20:21], vcc
	v_ashrrev_i32_e32 v53, 31, v52
	s_ashr_i32 s70, s18, 8
	v_ashrrev_i32_e32 v65, 31, v64
	v_cmp_lt_i32_e64 s[18:19], v119, v80
	v_cmp_le_i32_e64 s[20:21], v119, v80
	v_lshl_add_u32 v80, v119, 4, v10
	s_waitcnt lgkmcnt(0)
	v_ashrrev_i32_e32 v1, 31, v22
	v_cmp_eq_u32_e64 s[6:7], 64, v23
	v_cmp_ne_u32_e64 s[10:11], 64, v23
	v_cmp_ne_u32_sdwa s[60:61], v23, v30 src0_sel:DWORD src1_sel:WORD_0
	s_movk_i32 s68, 0xffc0
	s_mov_b64 s[72:73], 0
	v_cmp_eq_u64_e64 s[12:13], 0, v[28:29]
	v_cmp_ne_u64_e64 s[14:15], 0, v[28:29]
	v_mov_b64_e32 v[38:39], 0
	v_mov_b64_e32 v[26:27], 0
	s_movk_i32 s69, 0x108
	v_mov_b32_e32 v114, 1
	s_mov_b64 s[74:75], 0x1c0
	v_mov_b32_e32 v115, 0xd0
	v_mov_b32_e32 v116, 0x88
	v_mov_b32_e32 v49, v3
	v_cmp_eq_u32_e64 s[16:17], 0, v35
	v_mov_b32_e32 v35, v3
	v_ashrrev_i32_e32 v37, 31, v36
	v_lshlrev_b32_e32 v50, 9, v34
	v_mov_b32_e32 v51, v3
	v_lshlrev_b32_e32 v54, 11, v34
	v_mov_b32_e32 v55, v3
	v_mov_b32_e32 v56, v3
	v_lshl_add_u64 v[68:69], v[52:53], 0, 64
	v_sub_u32_e32 v40, 0, v118
	v_lshl_add_u64 v[70:71], v[64:65], 0, s[62:63]
	v_cmp_gt_i32_e64 s[22:23], 1, v119
	v_ashrrev_i32_e32 v81, 31, v80
	v_mov_b32_e32 v57, v3
	s_trap 2
	s_waitcnt vmcnt(0)
	v_and_b32_e32 v2, 1, v2
	v_cmp_eq_u32_e64 s[24:25], 1, v2
	s_xor_b64 s[78:79], s[24:25], -1
	s_branch .LBB4_77
.LBB4_76:                               ;   in Loop: Header=BB4_77 Depth=1
	s_or_b64 exec, exec, s[26:27]
	v_lshl_add_u64 v[38:39], v[38:39], 0, v[48:49]
	v_cmp_ge_u64_e32 vcc, v[38:39], v[4:5]
	s_or_b64 s[72:73], vcc, s[72:73]
	s_andn2_b64 exec, exec, s[72:73]
	s_cbranch_execz .LBB4_1003
.LBB4_77:                               ; =>This Loop Header: Depth=1
                                        ;     Child Loop BB4_96 Depth 2
                                        ;     Child Loop BB4_131 Depth 2
	;; [unrolled: 1-line block ×4, first 2 shown]
                                        ;       Child Loop BB4_215 Depth 3
                                        ;     Child Loop BB4_221 Depth 2
                                        ;       Child Loop BB4_222 Depth 3
                                        ;     Child Loop BB4_232 Depth 2
                                        ;     Child Loop BB4_237 Depth 2
                                        ;       Child Loop BB4_238 Depth 3
                                        ;     Child Loop BB4_249 Depth 2
                                        ;     Child Loop BB4_254 Depth 2
	;; [unrolled: 1-line block ×25, first 2 shown]
                                        ;       Child Loop BB4_301 Depth 3
                                        ;     Child Loop BB4_307 Depth 2
                                        ;       Child Loop BB4_308 Depth 3
                                        ;     Child Loop BB4_318 Depth 2
                                        ;     Child Loop BB4_323 Depth 2
                                        ;       Child Loop BB4_324 Depth 3
                                        ;     Child Loop BB4_335 Depth 2
                                        ;     Child Loop BB4_340 Depth 2
	;; [unrolled: 1-line block ×21, first 2 shown]
	v_sub_co_u32_e32 v2, vcc, v4, v38
	v_cvt_f64_u32_e32 v[82:83], v2
	s_nop 0
	v_subb_co_u32_e32 v12, vcc, v5, v39, vcc
	v_cvt_f64_u32_e32 v[12:13], v12
	v_ldexp_f64 v[12:13], v[12:13], 32
	v_add_f64 v[12:13], v[12:13], v[82:83]
	v_max_f64 v[82:83], v[66:67], v[66:67]
	v_min_f64 v[12:13], v[82:83], v[12:13]
	v_cvt_i32_f64_e32 v2, v[12:13]
	v_max_i32_e32 v41, 0, v2
	v_add_u32_e32 v12, 15, v41
	v_ashrrev_i32_e32 v13, 31, v12
	v_lshrrev_b32_e32 v13, 28, v13
	v_add_u32_e32 v12, v12, v13
	v_and_b32_e32 v12, -16, v12
	v_lshl_add_u64 v[10:11], v[38:39], 0, v[14:15]
	v_max_i32_e32 v82, s70, v12
	v_cmp_gt_i32_e64 s[26:27], 1, v2
	v_cmp_lt_i32_e64 s[28:29], 0, v2
	s_mov_b64 s[88:89], 0
	s_and_saveexec_b64 s[40:41], s[2:3]
	s_xor_b64 s[90:91], exec, s[40:41]
	s_cbranch_execz .LBB4_85
; %bb.78:                               ;   in Loop: Header=BB4_77 Depth=1
	s_mov_b64 s[42:43], 0
	s_and_saveexec_b64 s[40:41], s[4:5]
	s_xor_b64 s[88:89], exec, s[40:41]
	s_cbranch_execz .LBB4_570
; %bb.79:                               ;   in Loop: Header=BB4_77 Depth=1
	v_mov_b32_e32 v2, 0
	s_and_saveexec_b64 s[92:93], s[28:29]
	s_cbranch_execz .LBB4_428
; %bb.80:                               ;   in Loop: Header=BB4_77 Depth=1
	s_and_saveexec_b64 s[40:41], s[0:1]
	s_cbranch_execz .LBB4_82
; %bb.81:                               ;   in Loop: Header=BB4_77 Depth=1
	s_trap 2
	ds_read_b128 v[84:87], v0
	s_waitcnt lgkmcnt(0)
	v_lshl_add_u64 v[12:13], v[84:85], 0, v[10:11]
	v_lshl_add_u64 v[10:11], v[86:87], 0, v[10:11]
	v_cmp_ne_u64_e32 vcc, 0, v[86:87]
	ds_write_b64 v0, v[12:13]
	s_nop 0
	v_cndmask_b32_e32 v11, 0, v11, vcc
	v_cndmask_b32_e32 v10, 0, v10, vcc
	ds_write_b64 v0, v[10:11]
.LBB4_82:                               ;   in Loop: Header=BB4_77 Depth=1
	s_or_b64 exec, exec, s[40:41]
	v_and_b32_e32 v2, 12, v112
	v_min_i32_e32 v82, v82, v41
	v_cmp_ne_u32_e32 vcc, 0, v2
	s_and_saveexec_b64 s[42:43], vcc
	s_cbranch_execz .LBB4_123
; %bb.83:                               ;   in Loop: Header=BB4_77 Depth=1
	v_and_b32_e32 v2, 8, v112
	s_waitcnt vmcnt(0) lgkmcnt(0)
	v_lshl_add_u64 v[12:13], v[32:33], 0, v[2:3]
	v_lshl_add_u64 v[10:11], v[8:9], 0, 1
	v_cmp_lt_u64_e32 vcc, v[12:13], v[10:11]
	s_and_saveexec_b64 s[44:45], vcc
	s_cbranch_execz .LBB4_110
; %bb.84:                               ;   in Loop: Header=BB4_77 Depth=1
	v_and_b32_e32 v9, 64, v112
	s_mov_b32 s64, 0
	v_cmp_eq_u32_e32 vcc, 0, v9
	s_mov_b64 s[94:95], 0
                                        ; implicit-def: $sgpr30_sgpr31
                                        ; implicit-def: $sgpr34_sgpr35
                                        ; implicit-def: $sgpr36_sgpr37
	s_branch .LBB4_96
.LBB4_85:                               ;   in Loop: Header=BB4_77 Depth=1
	s_andn2_saveexec_b64 s[90:91], s[90:91]
	s_cbranch_execz .LBB4_1001
.LBB4_86:                               ;   in Loop: Header=BB4_77 Depth=1
	s_mov_b64 s[42:43], 0
	s_mov_b64 s[40:41], s[88:89]
	s_and_saveexec_b64 s[44:45], s[76:77]
	s_xor_b64 s[92:93], exec, s[44:45]
	s_cbranch_execz .LBB4_619
; %bb.87:                               ;   in Loop: Header=BB4_77 Depth=1
	v_mov_b32_e32 v2, 0
	s_and_saveexec_b64 s[94:95], s[28:29]
	s_cbranch_execz .LBB4_478
; %bb.88:                               ;   in Loop: Header=BB4_77 Depth=1
	s_and_saveexec_b64 s[40:41], s[0:1]
	s_cbranch_execz .LBB4_90
; %bb.89:                               ;   in Loop: Header=BB4_77 Depth=1
	s_trap 2
	ds_read2_b64 v[84:87], v0 offset1:1
	ds_read_b64 v[12:13], v0
	s_waitcnt lgkmcnt(0)
	v_lshl_add_u64 v[84:85], v[84:85], 0, v[10:11]
	v_lshl_add_u64 v[86:87], v[86:87], 0, v[10:11]
	;; [unrolled: 1-line block ×3, first 2 shown]
	v_cmp_ne_u64_e32 vcc, 0, v[12:13]
	ds_write_b64 v0, v[84:85]
	ds_write_b64 v0, v[86:87]
	v_cndmask_b32_e32 v11, 0, v11, vcc
	v_cndmask_b32_e32 v10, 0, v10, vcc
	ds_write_b64 v0, v[10:11]
.LBB4_90:                               ;   in Loop: Header=BB4_77 Depth=1
	s_or_b64 exec, exec, s[40:41]
	v_and_b32_e32 v2, 8, v112
	v_min_i32_e32 v82, v82, v41
	v_cmp_ne_u32_e32 vcc, 0, v2
	s_and_saveexec_b64 s[42:43], vcc
	s_cbranch_execz .LBB4_147
; %bb.91:                               ;   in Loop: Header=BB4_77 Depth=1
	s_waitcnt vmcnt(0) lgkmcnt(0)
	v_lshl_add_u64 v[12:13], v[32:33], 0, 8
	v_lshl_add_u64 v[10:11], v[8:9], 0, 1
	v_cmp_lt_u64_e32 vcc, v[12:13], v[10:11]
	s_and_saveexec_b64 s[44:45], vcc
	s_cbranch_execz .LBB4_138
; %bb.92:                               ;   in Loop: Header=BB4_77 Depth=1
	v_and_b32_e32 v2, 64, v112
	s_mov_b32 s66, 0
	v_cmp_eq_u32_e32 vcc, 0, v2
	s_mov_b64 s[30:31], 0
                                        ; implicit-def: $sgpr34_sgpr35
                                        ; implicit-def: $sgpr36_sgpr37
                                        ; implicit-def: $sgpr38_sgpr39
	s_branch .LBB4_103
.LBB4_93:                               ;   in Loop: Header=BB4_96 Depth=2
	s_waitcnt vmcnt(0) lgkmcnt(0)
	v_lshl_add_u64 v[12:13], v[32:33], 0, v[2:3]
	v_cmp_ge_u64_e64 s[40:41], v[12:13], v[10:11]
	s_or_b64 s[50:51], s[50:51], exec
	s_orn2_b64 s[48:49], s[40:41], exec
.LBB4_94:                               ;   in Loop: Header=BB4_96 Depth=2
	s_or_b64 exec, exec, s[54:55]
	s_andn2_b64 s[40:41], s[36:37], exec
	s_and_b64 s[36:37], s[50:51], exec
	s_or_b64 s[36:37], s[40:41], s[36:37]
	s_andn2_b64 s[40:41], s[34:35], exec
	s_and_b64 s[34:35], s[48:49], exec
	s_or_b64 s[34:35], s[40:41], s[34:35]
.LBB4_95:                               ;   in Loop: Header=BB4_96 Depth=2
	s_or_b64 exec, exec, s[38:39]
	s_and_b64 s[40:41], exec, s[34:35]
	s_or_b64 s[94:95], s[40:41], s[94:95]
	s_andn2_b64 s[40:41], s[30:31], exec
	s_and_b64 s[30:31], s[36:37], exec
	s_or_b64 s[30:31], s[40:41], s[30:31]
	s_andn2_b64 exec, exec, s[94:95]
	s_cbranch_execz .LBB4_107
.LBB4_96:                               ;   Parent Loop BB4_77 Depth=1
                                        ; =>  This Inner Loop Header: Depth=2
	s_sleep 1
	s_waitcnt vmcnt(0) lgkmcnt(0)
	flat_load_dwordx2 v[32:33], v[20:21] sc0 sc1
	s_or_b64 s[36:37], s[36:37], exec
	s_or_b64 s[34:35], s[34:35], exec
                                        ; implicit-def: $vgpr9
	s_and_saveexec_b64 s[38:39], vcc
	s_cbranch_execz .LBB4_95
; %bb.97:                               ;   in Loop: Header=BB4_96 Depth=2
	s_cmpk_lt_i32 s64, 0x270f
	s_cselect_b64 s[52:53], -1, 0
	s_cmpk_gt_i32 s64, 0x270e
	s_mov_b64 s[48:49], -1
	s_cbranch_scc0 .LBB4_99
; %bb.98:                               ;   in Loop: Header=BB4_96 Depth=2
	s_trap 2
	ds_read_b64 v[12:13], v0
	s_andn2_b64 s[52:53], s[52:53], exec
	s_mov_b32 s64, 0
	s_mov_b64 s[50:51], 0
	s_waitcnt vmcnt(0) lgkmcnt(0)
	flat_load_dword v9, v[12:13] sc0 sc1
	s_waitcnt vmcnt(0) lgkmcnt(0)
	buffer_inv sc0 sc1
	v_cmp_eq_u32_e64 s[40:41], 0, v9
	s_and_b64 s[40:41], s[40:41], exec
	s_or_b64 s[52:53], s[52:53], s[40:41]
	s_and_saveexec_b64 s[54:55], s[52:53]
	s_cbranch_execz .LBB4_94
	s_branch .LBB4_93
.LBB4_99:                               ;   in Loop: Header=BB4_96 Depth=2
	s_add_i32 s64, s64, 1
	s_mov_b64 s[50:51], -1
                                        ; implicit-def: $vgpr9
	s_and_saveexec_b64 s[54:55], s[52:53]
	s_cbranch_execz .LBB4_94
	s_branch .LBB4_93
.LBB4_100:                              ;   in Loop: Header=BB4_103 Depth=2
	s_waitcnt vmcnt(0) lgkmcnt(0)
	v_lshl_add_u64 v[12:13], v[32:33], 0, 8
	v_cmp_ge_u64_e64 s[40:41], v[12:13], v[10:11]
	s_or_b64 s[52:53], s[52:53], exec
	s_orn2_b64 s[50:51], s[40:41], exec
.LBB4_101:                              ;   in Loop: Header=BB4_103 Depth=2
	s_or_b64 exec, exec, s[64:65]
	s_andn2_b64 s[40:41], s[38:39], exec
	s_and_b64 s[38:39], s[52:53], exec
	s_or_b64 s[38:39], s[40:41], s[38:39]
	s_andn2_b64 s[40:41], s[36:37], exec
	s_and_b64 s[36:37], s[50:51], exec
	s_or_b64 s[36:37], s[40:41], s[36:37]
.LBB4_102:                              ;   in Loop: Header=BB4_103 Depth=2
	s_or_b64 exec, exec, s[48:49]
	s_and_b64 s[40:41], exec, s[36:37]
	s_or_b64 s[30:31], s[40:41], s[30:31]
	s_andn2_b64 s[40:41], s[34:35], exec
	s_and_b64 s[34:35], s[38:39], exec
	s_or_b64 s[34:35], s[40:41], s[34:35]
	s_andn2_b64 exec, exec, s[30:31]
	s_cbranch_execz .LBB4_135
.LBB4_103:                              ;   Parent Loop BB4_77 Depth=1
                                        ; =>  This Inner Loop Header: Depth=2
	s_sleep 1
	s_waitcnt vmcnt(0) lgkmcnt(0)
	flat_load_dwordx2 v[32:33], v[20:21] sc0 sc1
	s_or_b64 s[38:39], s[38:39], exec
	s_or_b64 s[36:37], s[36:37], exec
                                        ; implicit-def: $vgpr2
	s_and_saveexec_b64 s[48:49], vcc
	s_cbranch_execz .LBB4_102
; %bb.104:                              ;   in Loop: Header=BB4_103 Depth=2
	s_cmpk_lt_i32 s66, 0x270f
	s_cselect_b64 s[54:55], -1, 0
	s_cmpk_gt_i32 s66, 0x270e
	s_mov_b64 s[50:51], -1
	s_cbranch_scc0 .LBB4_106
; %bb.105:                              ;   in Loop: Header=BB4_103 Depth=2
	s_trap 2
	ds_read_b64 v[12:13], v0
	s_andn2_b64 s[54:55], s[54:55], exec
	s_mov_b32 s66, 0
	s_mov_b64 s[52:53], 0
	s_waitcnt vmcnt(0) lgkmcnt(0)
	flat_load_dword v2, v[12:13] sc0 sc1
	s_waitcnt vmcnt(0) lgkmcnt(0)
	buffer_inv sc0 sc1
	v_cmp_eq_u32_e64 s[40:41], 0, v2
	s_and_b64 s[40:41], s[40:41], exec
	s_or_b64 s[54:55], s[54:55], s[40:41]
	s_and_saveexec_b64 s[64:65], s[54:55]
	s_cbranch_execz .LBB4_101
	s_branch .LBB4_100
.LBB4_106:                              ;   in Loop: Header=BB4_103 Depth=2
	s_add_i32 s66, s66, 1
	s_mov_b64 s[52:53], -1
                                        ; implicit-def: $vgpr2
	s_and_saveexec_b64 s[64:65], s[54:55]
	s_cbranch_execz .LBB4_101
	s_branch .LBB4_100
.LBB4_107:                              ;   in Loop: Header=BB4_77 Depth=1
	s_or_b64 exec, exec, s[94:95]
	s_xor_b64 s[40:41], s[30:31], -1
	s_and_saveexec_b64 s[94:95], s[40:41]
	s_xor_b64 s[40:41], exec, s[94:95]
	s_cbranch_execz .LBB4_109
; %bb.108:                              ;   in Loop: Header=BB4_77 Depth=1
	v_or_b32_e32 v112, 64, v112
	s_waitcnt lgkmcnt(0)
	ds_write_b32 v0, v9
	s_trap 2
.LBB4_109:                              ;   in Loop: Header=BB4_77 Depth=1
	s_or_b64 exec, exec, s[40:41]
.LBB4_110:                              ;   in Loop: Header=BB4_77 Depth=1
	s_or_b64 exec, exec, s[44:45]
	v_and_b32_e32 v9, 0x108, v112
	v_cmp_ne_u32_e32 vcc, s69, v9
	;;#ASMSTART
	s_wakeup
	;;#ASMEND
                                        ; implicit-def: $vgpr12_vgpr13
	s_and_saveexec_b64 s[40:41], vcc
	s_xor_b64 s[40:41], exec, s[40:41]
; %bb.111:                              ;   in Loop: Header=BB4_77 Depth=1
	v_and_b32_e32 v12, 7, v8
	v_mov_b32_e32 v13, v3
; %bb.112:                              ;   in Loop: Header=BB4_77 Depth=1
	s_andn2_saveexec_b64 s[40:41], s[40:41]
	s_cbranch_execz .LBB4_114
; %bb.113:                              ;   in Loop: Header=BB4_77 Depth=1
	v_and_b32_e32 v12, 7, v8
	v_mov_b32_e32 v13, v3
	v_mad_u64_u32 v[8:9], s[44:45], v12, 24, v[6:7]
	v_ashrrev_i32_e32 v83, 31, v82
	flat_store_dwordx2 v[8:9], v[82:83] offset:8
.LBB4_114:                              ;   in Loop: Header=BB4_77 Depth=1
	s_or_b64 exec, exec, s[40:41]
	v_and_b32_e32 v8, 0x100, v112
	v_cmp_ne_u32_e32 vcc, 0, v8
	s_mov_b64 s[40:41], -1
                                        ; implicit-def: $vgpr8_vgpr9
	s_and_saveexec_b64 s[44:45], vcc
	s_cbranch_execz .LBB4_118
; %bb.115:                              ;   in Loop: Header=BB4_77 Depth=1
	v_mad_u64_u32 v[84:85], s[40:41], v12, 24, v[6:7]
	v_mov_b32_e32 v8, v85
	v_mad_u64_u32 v[8:9], s[40:41], v13, 24, v[8:9]
	v_mov_b32_e32 v85, v8
	flat_load_dword v8, v[84:85]
	s_waitcnt vmcnt(0) lgkmcnt(0)
	v_cmp_ne_u32_e32 vcc, 1, v8
	v_cmp_eq_u32_e64 s[40:41], 1, v8
                                        ; implicit-def: $vgpr8_vgpr9
	s_and_saveexec_b64 s[94:95], s[40:41]
	s_cbranch_execz .LBB4_117
; %bb.116:                              ;   in Loop: Header=BB4_77 Depth=1
	flat_load_dword v8, v[84:85] offset:4 sc0 sc1
	s_waitcnt vmcnt(0) lgkmcnt(0)
	v_ashrrev_i32_e32 v9, 31, v8
.LBB4_117:                              ;   in Loop: Header=BB4_77 Depth=1
	s_or_b64 exec, exec, s[94:95]
	s_orn2_b64 s[40:41], vcc, exec
.LBB4_118:                              ;   in Loop: Header=BB4_77 Depth=1
	s_or_b64 exec, exec, s[44:45]
	s_and_saveexec_b64 s[44:45], s[40:41]
; %bb.119:                              ;   in Loop: Header=BB4_77 Depth=1
	v_mul_lo_u32 v13, v13, v22
	v_mul_lo_u32 v83, v12, v1
	v_mad_u64_u32 v[8:9], s[40:41], v12, v22, 0
	v_add3_u32 v9, v9, v83, v13
; %bb.120:                              ;   in Loop: Header=BB4_77 Depth=1
	s_or_b64 exec, exec, s[44:45]
	v_cmp_eq_u32_e32 vcc, 0, v2
	v_lshl_add_u64 v[8:9], v[24:25], 0, v[8:9]
	s_nop 0
	v_cndmask_b32_e32 v2, v115, v116, vcc
	v_add_u32_e32 v2, v0, v2
	ds_write_b64 v2, v[8:9] offset:584
	v_and_b32_e32 v2, 0x2000, v112
	v_cmp_ne_u32_e32 vcc, 0, v2
	s_and_saveexec_b64 s[40:41], vcc
	s_cbranch_execz .LBB4_122
; %bb.121:                              ;   in Loop: Header=BB4_77 Depth=1
	ds_read_b64 v[8:9], v0 offset:872
	s_waitcnt lgkmcnt(0)
	v_lshl_add_u64 v[8:9], v[8:9], 0, 1
	ds_write_b64 v0, v[8:9] offset:872
.LBB4_122:                              ;   in Loop: Header=BB4_77 Depth=1
	s_or_b64 exec, exec, s[40:41]
	v_mov_b64_e32 v[8:9], v[10:11]
.LBB4_123:                              ;   in Loop: Header=BB4_77 Depth=1
	s_or_b64 exec, exec, s[42:43]
	s_and_saveexec_b64 s[40:41], s[10:11]
	s_cbranch_execz .LBB4_166
; %bb.124:                              ;   in Loop: Header=BB4_77 Depth=1
	s_and_saveexec_b64 s[42:43], s[60:61]
	s_xor_b64 s[42:43], exec, s[42:43]
	s_cbranch_execz .LBB4_163
; %bb.125:                              ;   in Loop: Header=BB4_77 Depth=1
	s_and_saveexec_b64 s[44:45], s[16:17]
	s_cbranch_execz .LBB4_162
; %bb.126:                              ;   in Loop: Header=BB4_77 Depth=1
	s_mov_b64 s[30:31], exec
	v_mbcnt_lo_u32_b32 v2, s30, 0
	v_mbcnt_hi_u32_b32 v2, s31, v2
	v_cmp_eq_u32_e32 vcc, 0, v2
	s_waitcnt lgkmcnt(0)
	s_and_saveexec_b64 s[94:95], vcc
	s_cbranch_execz .LBB4_128
; %bb.127:                              ;   in Loop: Header=BB4_77 Depth=1
	s_bcnt1_i32_b64 vcc_lo, s[30:31]
	v_mov_b32_e32 v2, vcc_lo
	ds_add_u64 v0, v[2:3]
	s_trap 2
.LBB4_128:                              ;   in Loop: Header=BB4_77 Depth=1
	s_or_b64 exec, exec, s[94:95]
	s_trap 2
	ds_read_b64 v[10:11], v0
	s_waitcnt lgkmcnt(0)
	v_lshl_add_u64 v[26:27], v[26:27], 0, v[34:35]
	v_cmp_lt_u64_e32 vcc, v[10:11], v[26:27]
	s_and_saveexec_b64 s[94:95], vcc
	s_cbranch_execz .LBB4_161
; %bb.129:                              ;   in Loop: Header=BB4_77 Depth=1
	s_mov_b32 s50, 0
	s_mov_b64 s[30:31], 0
                                        ; implicit-def: $sgpr34_sgpr35
                                        ; implicit-def: $sgpr36_sgpr37
	s_branch .LBB4_131
.LBB4_130:                              ;   in Loop: Header=BB4_131 Depth=2
	s_or_b64 exec, exec, s[48:49]
	s_and_b64 vcc, exec, vcc
	s_or_b64 s[30:31], vcc, s[30:31]
	s_andn2_b64 vcc, s[34:35], exec
	s_and_b64 s[34:35], s[36:37], exec
	s_or_b64 s[34:35], vcc, s[34:35]
	s_andn2_b64 exec, exec, s[30:31]
	s_cbranch_execz .LBB4_159
.LBB4_131:                              ;   Parent Loop BB4_77 Depth=1
                                        ; =>  This Inner Loop Header: Depth=2
	s_add_i32 s50, s50, 1
	s_cmpk_lg_i32 s50, 0x2710
	s_cselect_b64 s[38:39], -1, 0
	s_and_b64 vcc, exec, s[38:39]
	s_cbranch_vccz .LBB4_133
; %bb.132:                              ;   in Loop: Header=BB4_131 Depth=2
	s_mov_b64 vcc, -1
	s_or_b64 s[36:37], s[36:37], exec
	s_and_saveexec_b64 s[48:49], s[38:39]
	s_cbranch_execz .LBB4_130
	s_branch .LBB4_134
.LBB4_133:                              ;   in Loop: Header=BB4_131 Depth=2
	s_trap 2
	ds_read_b64 v[10:11], v0
	s_andn2_b64 s[38:39], s[38:39], exec
	s_mov_b32 s50, 0
	s_waitcnt vmcnt(0) lgkmcnt(0)
	flat_load_dword v2, v[10:11] sc0 sc1
	s_waitcnt vmcnt(0) lgkmcnt(0)
	buffer_inv sc0 sc1
	v_cmp_eq_u32_e32 vcc, 0, v2
	s_and_b64 vcc, vcc, exec
	s_or_b64 s[38:39], s[38:39], vcc
	s_mov_b64 vcc, -1
	s_or_b64 s[36:37], s[36:37], exec
	s_and_saveexec_b64 s[48:49], s[38:39]
	s_cbranch_execz .LBB4_130
.LBB4_134:                              ;   in Loop: Header=BB4_131 Depth=2
	s_sleep 1
	s_trap 2
	ds_read_b64 v[10:11], v0
	s_waitcnt lgkmcnt(0)
	s_andn2_b64 s[36:37], s[36:37], exec
	v_cmp_ge_u64_e32 vcc, v[10:11], v[26:27]
	s_orn2_b64 vcc, vcc, exec
	s_branch .LBB4_130
.LBB4_135:                              ;   in Loop: Header=BB4_77 Depth=1
	s_or_b64 exec, exec, s[30:31]
	s_xor_b64 s[40:41], s[34:35], -1
	s_and_saveexec_b64 vcc, s[40:41]
	s_xor_b64 s[40:41], exec, vcc
	s_cbranch_execz .LBB4_137
; %bb.136:                              ;   in Loop: Header=BB4_77 Depth=1
	v_or_b32_e32 v112, 64, v112
	s_waitcnt lgkmcnt(0)
	ds_write_b32 v0, v2
	s_trap 2
.LBB4_137:                              ;   in Loop: Header=BB4_77 Depth=1
	s_or_b64 exec, exec, s[40:41]
.LBB4_138:                              ;   in Loop: Header=BB4_77 Depth=1
	s_or_b64 exec, exec, s[44:45]
	v_and_b32_e32 v2, 0x100, v112
	v_cmp_ne_u32_e32 vcc, 0, v2
	v_and_b32_e32 v2, 7, v8
	s_mov_b64 s[40:41], -1
	;;#ASMSTART
	s_wakeup
	;;#ASMEND
                                        ; implicit-def: $vgpr8_vgpr9
	s_and_saveexec_b64 s[44:45], vcc
	s_cbranch_execz .LBB4_142
; %bb.139:                              ;   in Loop: Header=BB4_77 Depth=1
	v_mad_u64_u32 v[12:13], s[40:41], v2, 24, v[6:7]
	flat_load_dword v8, v[12:13]
	v_ashrrev_i32_e32 v83, 31, v82
	flat_store_dwordx2 v[12:13], v[82:83] offset:8
	s_waitcnt vmcnt(0) lgkmcnt(0)
	v_cmp_ne_u32_e32 vcc, 1, v8
	v_cmp_eq_u32_e64 s[40:41], 1, v8
                                        ; implicit-def: $vgpr8_vgpr9
	s_and_saveexec_b64 s[30:31], s[40:41]
	s_cbranch_execz .LBB4_141
; %bb.140:                              ;   in Loop: Header=BB4_77 Depth=1
	flat_load_dword v8, v[12:13] offset:4 sc0 sc1
	s_waitcnt vmcnt(0) lgkmcnt(0)
	v_ashrrev_i32_e32 v9, 31, v8
.LBB4_141:                              ;   in Loop: Header=BB4_77 Depth=1
	s_or_b64 exec, exec, s[30:31]
	s_orn2_b64 s[40:41], vcc, exec
.LBB4_142:                              ;   in Loop: Header=BB4_77 Depth=1
	s_or_b64 exec, exec, s[44:45]
	s_and_saveexec_b64 s[44:45], s[40:41]
; %bb.143:                              ;   in Loop: Header=BB4_77 Depth=1
	v_mad_i64_i32 v[8:9], s[40:41], v2, v22, 0
; %bb.144:                              ;   in Loop: Header=BB4_77 Depth=1
	s_or_b64 exec, exec, s[44:45]
	v_and_b32_e32 v2, 0x2000, v112
	v_lshl_add_u64 v[8:9], v[24:25], 0, v[8:9]
	v_cmp_ne_u32_e32 vcc, 0, v2
	ds_write_b64 v0, v[8:9] offset:792
	s_and_saveexec_b64 s[40:41], vcc
	s_cbranch_execz .LBB4_146
; %bb.145:                              ;   in Loop: Header=BB4_77 Depth=1
	ds_read_b64 v[8:9], v0 offset:872
	s_waitcnt lgkmcnt(0)
	v_lshl_add_u64 v[8:9], v[8:9], 0, 1
	ds_write_b64 v0, v[8:9] offset:872
.LBB4_146:                              ;   in Loop: Header=BB4_77 Depth=1
	s_or_b64 exec, exec, s[40:41]
	v_mov_b64_e32 v[8:9], v[10:11]
.LBB4_147:                              ;   in Loop: Header=BB4_77 Depth=1
	s_or_b64 exec, exec, s[42:43]
	s_and_saveexec_b64 s[40:41], s[10:11]
	s_cbranch_execz .LBB4_185
; %bb.148:                              ;   in Loop: Header=BB4_77 Depth=1
	s_and_saveexec_b64 s[42:43], s[60:61]
	s_xor_b64 s[42:43], exec, s[42:43]
	s_cbranch_execz .LBB4_182
; %bb.149:                              ;   in Loop: Header=BB4_77 Depth=1
	s_and_saveexec_b64 s[44:45], s[16:17]
	s_cbranch_execz .LBB4_181
; %bb.150:                              ;   in Loop: Header=BB4_77 Depth=1
	s_mov_b64 s[34:35], exec
	v_mbcnt_lo_u32_b32 v2, s34, 0
	v_mbcnt_hi_u32_b32 v2, s35, v2
	v_cmp_eq_u32_e32 vcc, 0, v2
	s_waitcnt lgkmcnt(0)
	s_and_saveexec_b64 s[30:31], vcc
	s_cbranch_execz .LBB4_152
; %bb.151:                              ;   in Loop: Header=BB4_77 Depth=1
	s_bcnt1_i32_b64 vcc_lo, s[34:35]
	v_mov_b32_e32 v2, vcc_lo
	ds_add_u64 v0, v[2:3]
	s_trap 2
.LBB4_152:                              ;   in Loop: Header=BB4_77 Depth=1
	s_or_b64 exec, exec, s[30:31]
	s_trap 2
	ds_read_b64 v[10:11], v0
	s_waitcnt lgkmcnt(0)
	v_lshl_add_u64 v[26:27], v[26:27], 0, v[34:35]
	v_cmp_lt_u64_e32 vcc, v[10:11], v[26:27]
	s_and_saveexec_b64 s[30:31], vcc
	s_cbranch_execz .LBB4_180
; %bb.153:                              ;   in Loop: Header=BB4_77 Depth=1
	s_mov_b32 s52, 0
	s_mov_b64 s[34:35], 0
                                        ; implicit-def: $sgpr36_sgpr37
                                        ; implicit-def: $sgpr38_sgpr39
	s_branch .LBB4_155
.LBB4_154:                              ;   in Loop: Header=BB4_155 Depth=2
	s_or_b64 exec, exec, s[50:51]
	s_and_b64 vcc, exec, vcc
	s_or_b64 s[34:35], vcc, s[34:35]
	s_andn2_b64 vcc, s[36:37], exec
	s_and_b64 s[36:37], s[38:39], exec
	s_or_b64 s[36:37], vcc, s[36:37]
	s_andn2_b64 exec, exec, s[34:35]
	s_cbranch_execz .LBB4_178
.LBB4_155:                              ;   Parent Loop BB4_77 Depth=1
                                        ; =>  This Inner Loop Header: Depth=2
	s_add_i32 s52, s52, 1
	s_cmpk_lg_i32 s52, 0x2710
	s_cselect_b64 s[48:49], -1, 0
	s_and_b64 vcc, exec, s[48:49]
	s_cbranch_vccz .LBB4_157
; %bb.156:                              ;   in Loop: Header=BB4_155 Depth=2
	s_mov_b64 vcc, -1
	s_or_b64 s[38:39], s[38:39], exec
	s_and_saveexec_b64 s[50:51], s[48:49]
	s_cbranch_execz .LBB4_154
	s_branch .LBB4_158
.LBB4_157:                              ;   in Loop: Header=BB4_155 Depth=2
	s_trap 2
	ds_read_b64 v[10:11], v0
	s_andn2_b64 s[48:49], s[48:49], exec
	s_mov_b32 s52, 0
	s_waitcnt vmcnt(0) lgkmcnt(0)
	flat_load_dword v2, v[10:11] sc0 sc1
	s_waitcnt vmcnt(0) lgkmcnt(0)
	buffer_inv sc0 sc1
	v_cmp_eq_u32_e32 vcc, 0, v2
	s_and_b64 vcc, vcc, exec
	s_or_b64 s[48:49], s[48:49], vcc
	s_mov_b64 vcc, -1
	s_or_b64 s[38:39], s[38:39], exec
	s_and_saveexec_b64 s[50:51], s[48:49]
	s_cbranch_execz .LBB4_154
.LBB4_158:                              ;   in Loop: Header=BB4_155 Depth=2
	s_sleep 1
	s_trap 2
	ds_read_b64 v[10:11], v0
	s_waitcnt lgkmcnt(0)
	s_andn2_b64 s[38:39], s[38:39], exec
	v_cmp_ge_u64_e32 vcc, v[10:11], v[26:27]
	s_orn2_b64 vcc, vcc, exec
	s_branch .LBB4_154
.LBB4_159:                              ;   in Loop: Header=BB4_77 Depth=1
	s_or_b64 exec, exec, s[30:31]
	s_and_saveexec_b64 vcc, s[34:35]
	s_xor_b64 vcc, exec, vcc
	s_cbranch_execz .LBB4_161
; %bb.160:                              ;   in Loop: Header=BB4_77 Depth=1
	ds_write_b32 v0, v114
	s_trap 2
.LBB4_161:                              ;   in Loop: Header=BB4_77 Depth=1
	s_or_b64 exec, exec, s[94:95]
	;;#ASMSTART
	s_wakeup
	;;#ASMEND
.LBB4_162:                              ;   in Loop: Header=BB4_77 Depth=1
	s_or_b64 exec, exec, s[44:45]
.LBB4_163:                              ;   in Loop: Header=BB4_77 Depth=1
	s_andn2_saveexec_b64 s[42:43], s[42:43]
	s_cbranch_execz .LBB4_165
; %bb.164:                              ;   in Loop: Header=BB4_77 Depth=1
	s_waitcnt lgkmcnt(0)
	s_barrier
.LBB4_165:                              ;   in Loop: Header=BB4_77 Depth=1
	s_or_b64 exec, exec, s[42:43]
.LBB4_166:                              ;   in Loop: Header=BB4_77 Depth=1
	s_or_b64 exec, exec, s[40:41]
	s_trap 2
	ds_read_b32 v10, v0
	v_and_b32_e32 v2, 0x4000, v112
	v_cmp_ne_u32_e32 vcc, 0, v2
	s_xor_b64 s[40:41], s[6:7], -1
	s_and_b64 s[42:43], s[40:41], vcc
	s_and_saveexec_b64 s[40:41], s[42:43]
	s_cbranch_execz .LBB4_204
; %bb.167:                              ;   in Loop: Header=BB4_77 Depth=1
	s_and_saveexec_b64 s[42:43], s[60:61]
	s_xor_b64 s[42:43], exec, s[42:43]
	s_cbranch_execz .LBB4_201
; %bb.168:                              ;   in Loop: Header=BB4_77 Depth=1
	s_and_saveexec_b64 s[44:45], s[16:17]
	s_cbranch_execz .LBB4_200
; %bb.169:                              ;   in Loop: Header=BB4_77 Depth=1
	s_mov_b64 s[30:31], exec
	v_mbcnt_lo_u32_b32 v2, s30, 0
	v_mbcnt_hi_u32_b32 v2, s31, v2
	v_cmp_eq_u32_e32 vcc, 0, v2
	s_waitcnt lgkmcnt(0)
	s_and_saveexec_b64 s[94:95], vcc
	s_cbranch_execz .LBB4_171
; %bb.170:                              ;   in Loop: Header=BB4_77 Depth=1
	s_bcnt1_i32_b64 vcc_lo, s[30:31]
	v_mov_b32_e32 v2, vcc_lo
	ds_add_u64 v0, v[2:3]
	s_trap 2
.LBB4_171:                              ;   in Loop: Header=BB4_77 Depth=1
	s_or_b64 exec, exec, s[94:95]
	s_trap 2
	ds_read_b64 v[12:13], v0
	s_waitcnt lgkmcnt(0)
	v_lshl_add_u64 v[26:27], v[26:27], 0, v[34:35]
	v_cmp_lt_u64_e32 vcc, v[12:13], v[26:27]
	s_and_saveexec_b64 s[94:95], vcc
	s_cbranch_execz .LBB4_199
; %bb.172:                              ;   in Loop: Header=BB4_77 Depth=1
	s_mov_b32 s50, 0
	s_mov_b64 s[30:31], 0
                                        ; implicit-def: $sgpr34_sgpr35
                                        ; implicit-def: $sgpr36_sgpr37
	s_branch .LBB4_174
.LBB4_173:                              ;   in Loop: Header=BB4_174 Depth=2
	s_or_b64 exec, exec, s[48:49]
	s_and_b64 vcc, exec, vcc
	s_or_b64 s[30:31], vcc, s[30:31]
	s_andn2_b64 vcc, s[34:35], exec
	s_and_b64 s[34:35], s[36:37], exec
	s_or_b64 s[34:35], vcc, s[34:35]
	s_andn2_b64 exec, exec, s[30:31]
	s_cbranch_execz .LBB4_197
.LBB4_174:                              ;   Parent Loop BB4_77 Depth=1
                                        ; =>  This Inner Loop Header: Depth=2
	s_add_i32 s50, s50, 1
	s_cmpk_lg_i32 s50, 0x2710
	s_cselect_b64 s[38:39], -1, 0
	s_and_b64 vcc, exec, s[38:39]
	s_cbranch_vccz .LBB4_176
; %bb.175:                              ;   in Loop: Header=BB4_174 Depth=2
	s_mov_b64 vcc, -1
	s_or_b64 s[36:37], s[36:37], exec
	s_and_saveexec_b64 s[48:49], s[38:39]
	s_cbranch_execz .LBB4_173
	s_branch .LBB4_177
.LBB4_176:                              ;   in Loop: Header=BB4_174 Depth=2
	s_trap 2
	ds_read_b64 v[12:13], v0
	s_andn2_b64 s[38:39], s[38:39], exec
	s_mov_b32 s50, 0
	s_waitcnt vmcnt(0) lgkmcnt(0)
	flat_load_dword v2, v[12:13] sc0 sc1
	s_waitcnt vmcnt(0) lgkmcnt(0)
	buffer_inv sc0 sc1
	v_cmp_eq_u32_e32 vcc, 0, v2
	s_and_b64 vcc, vcc, exec
	s_or_b64 s[38:39], s[38:39], vcc
	s_mov_b64 vcc, -1
	s_or_b64 s[36:37], s[36:37], exec
	s_and_saveexec_b64 s[48:49], s[38:39]
	s_cbranch_execz .LBB4_173
.LBB4_177:                              ;   in Loop: Header=BB4_174 Depth=2
	s_sleep 1
	s_trap 2
	ds_read_b64 v[12:13], v0
	s_waitcnt lgkmcnt(0)
	s_andn2_b64 s[36:37], s[36:37], exec
	v_cmp_ge_u64_e32 vcc, v[12:13], v[26:27]
	s_orn2_b64 vcc, vcc, exec
	s_branch .LBB4_173
.LBB4_178:                              ;   in Loop: Header=BB4_77 Depth=1
	s_or_b64 exec, exec, s[34:35]
	s_and_saveexec_b64 vcc, s[36:37]
	s_xor_b64 vcc, exec, vcc
	s_cbranch_execz .LBB4_180
; %bb.179:                              ;   in Loop: Header=BB4_77 Depth=1
	ds_write_b32 v0, v114
	s_trap 2
.LBB4_180:                              ;   in Loop: Header=BB4_77 Depth=1
	s_or_b64 exec, exec, s[30:31]
	;;#ASMSTART
	s_wakeup
	;;#ASMEND
.LBB4_181:                              ;   in Loop: Header=BB4_77 Depth=1
	s_or_b64 exec, exec, s[44:45]
.LBB4_182:                              ;   in Loop: Header=BB4_77 Depth=1
	s_andn2_saveexec_b64 s[42:43], s[42:43]
	s_cbranch_execz .LBB4_184
; %bb.183:                              ;   in Loop: Header=BB4_77 Depth=1
	s_waitcnt lgkmcnt(0)
	s_barrier
.LBB4_184:                              ;   in Loop: Header=BB4_77 Depth=1
	s_or_b64 exec, exec, s[42:43]
.LBB4_185:                              ;   in Loop: Header=BB4_77 Depth=1
	s_or_b64 exec, exec, s[40:41]
	s_trap 2
	ds_read_b32 v10, v0
	v_and_b32_e32 v2, 0x4000, v112
	v_cmp_ne_u32_e32 vcc, 0, v2
	s_xor_b64 s[40:41], s[6:7], -1
	s_and_b64 s[42:43], s[40:41], vcc
	s_and_saveexec_b64 s[40:41], s[42:43]
	s_cbranch_execz .LBB4_290
; %bb.186:                              ;   in Loop: Header=BB4_77 Depth=1
	s_and_saveexec_b64 s[42:43], s[60:61]
	s_xor_b64 s[42:43], exec, s[42:43]
	s_cbranch_execz .LBB4_287
; %bb.187:                              ;   in Loop: Header=BB4_77 Depth=1
	s_and_saveexec_b64 s[44:45], s[16:17]
	s_cbranch_execz .LBB4_286
; %bb.188:                              ;   in Loop: Header=BB4_77 Depth=1
	s_mov_b64 s[34:35], exec
	v_mbcnt_lo_u32_b32 v2, s34, 0
	v_mbcnt_hi_u32_b32 v2, s35, v2
	v_cmp_eq_u32_e32 vcc, 0, v2
	s_waitcnt lgkmcnt(0)
	s_and_saveexec_b64 s[30:31], vcc
	s_cbranch_execz .LBB4_190
; %bb.189:                              ;   in Loop: Header=BB4_77 Depth=1
	s_bcnt1_i32_b64 vcc_lo, s[34:35]
	v_mov_b32_e32 v2, vcc_lo
	ds_add_u64 v0, v[2:3]
	s_trap 2
.LBB4_190:                              ;   in Loop: Header=BB4_77 Depth=1
	s_or_b64 exec, exec, s[30:31]
	s_trap 2
	ds_read_b64 v[12:13], v0
	s_waitcnt lgkmcnt(0)
	v_lshl_add_u64 v[26:27], v[26:27], 0, v[34:35]
	v_cmp_lt_u64_e32 vcc, v[12:13], v[26:27]
	s_and_saveexec_b64 s[30:31], vcc
	s_cbranch_execz .LBB4_285
; %bb.191:                              ;   in Loop: Header=BB4_77 Depth=1
	s_mov_b32 s52, 0
	s_mov_b64 s[34:35], 0
                                        ; implicit-def: $sgpr36_sgpr37
                                        ; implicit-def: $sgpr38_sgpr39
	s_branch .LBB4_193
.LBB4_192:                              ;   in Loop: Header=BB4_193 Depth=2
	s_or_b64 exec, exec, s[50:51]
	s_and_b64 vcc, exec, vcc
	s_or_b64 s[34:35], vcc, s[34:35]
	s_andn2_b64 vcc, s[36:37], exec
	s_and_b64 s[36:37], s[38:39], exec
	s_or_b64 s[36:37], vcc, s[36:37]
	s_andn2_b64 exec, exec, s[34:35]
	s_cbranch_execz .LBB4_283
.LBB4_193:                              ;   Parent Loop BB4_77 Depth=1
                                        ; =>  This Inner Loop Header: Depth=2
	s_add_i32 s52, s52, 1
	s_cmpk_lg_i32 s52, 0x2710
	s_cselect_b64 s[48:49], -1, 0
	s_and_b64 vcc, exec, s[48:49]
	s_cbranch_vccz .LBB4_195
; %bb.194:                              ;   in Loop: Header=BB4_193 Depth=2
	s_mov_b64 vcc, -1
	s_or_b64 s[38:39], s[38:39], exec
	s_and_saveexec_b64 s[50:51], s[48:49]
	s_cbranch_execz .LBB4_192
	s_branch .LBB4_196
.LBB4_195:                              ;   in Loop: Header=BB4_193 Depth=2
	s_trap 2
	ds_read_b64 v[12:13], v0
	s_andn2_b64 s[48:49], s[48:49], exec
	s_mov_b32 s52, 0
	s_waitcnt vmcnt(0) lgkmcnt(0)
	flat_load_dword v2, v[12:13] sc0 sc1
	s_waitcnt vmcnt(0) lgkmcnt(0)
	buffer_inv sc0 sc1
	v_cmp_eq_u32_e32 vcc, 0, v2
	s_and_b64 vcc, vcc, exec
	s_or_b64 s[48:49], s[48:49], vcc
	s_mov_b64 vcc, -1
	s_or_b64 s[38:39], s[38:39], exec
	s_and_saveexec_b64 s[50:51], s[48:49]
	s_cbranch_execz .LBB4_192
.LBB4_196:                              ;   in Loop: Header=BB4_193 Depth=2
	s_sleep 1
	s_trap 2
	ds_read_b64 v[12:13], v0
	s_waitcnt lgkmcnt(0)
	s_andn2_b64 s[38:39], s[38:39], exec
	v_cmp_ge_u64_e32 vcc, v[12:13], v[26:27]
	s_orn2_b64 vcc, vcc, exec
	s_branch .LBB4_192
.LBB4_197:                              ;   in Loop: Header=BB4_77 Depth=1
	s_or_b64 exec, exec, s[30:31]
	s_and_saveexec_b64 vcc, s[34:35]
	s_xor_b64 vcc, exec, vcc
	s_cbranch_execz .LBB4_199
; %bb.198:                              ;   in Loop: Header=BB4_77 Depth=1
	ds_write_b32 v0, v114
	s_trap 2
.LBB4_199:                              ;   in Loop: Header=BB4_77 Depth=1
	s_or_b64 exec, exec, s[94:95]
	;;#ASMSTART
	s_wakeup
	;;#ASMEND
.LBB4_200:                              ;   in Loop: Header=BB4_77 Depth=1
	s_or_b64 exec, exec, s[44:45]
.LBB4_201:                              ;   in Loop: Header=BB4_77 Depth=1
	s_andn2_saveexec_b64 s[42:43], s[42:43]
	s_cbranch_execz .LBB4_203
; %bb.202:                              ;   in Loop: Header=BB4_77 Depth=1
	s_waitcnt lgkmcnt(0)
	s_barrier
.LBB4_203:                              ;   in Loop: Header=BB4_77 Depth=1
	s_or_b64 exec, exec, s[42:43]
.LBB4_204:                              ;   in Loop: Header=BB4_77 Depth=1
	s_or_b64 exec, exec, s[40:41]
	s_trap 2
	ds_read_b64 v[84:85], v0
	s_waitcnt lgkmcnt(0)
	v_cmp_eq_u64_e32 vcc, 0, v[84:85]
	s_cbranch_vccnz .LBB4_271
; %bb.205:                              ;   in Loop: Header=BB4_77 Depth=1
	s_trap 2
	ds_read_b64 v[86:87], v0
	s_waitcnt lgkmcnt(0)
	v_cmp_eq_u64_e32 vcc, 0, v[86:87]
	s_cbranch_vccnz .LBB4_271
; %bb.206:                              ;   in Loop: Header=BB4_77 Depth=1
	s_trap 2
	ds_read_b64 v[96:97], v0
	v_cmp_eq_u32_e64 s[40:41], 0, v10
	s_waitcnt lgkmcnt(0)
	v_cmp_ne_u64_e32 vcc, 0, v[96:97]
	v_cndmask_b32_e64 v2, 0, v82, s[40:41]
	s_mov_b64 s[40:41], -1
	s_cbranch_vccz .LBB4_241
; %bb.207:                              ;   in Loop: Header=BB4_77 Depth=1
	s_and_saveexec_b64 s[42:43], s[18:19]
	s_cbranch_execz .LBB4_209
; %bb.208:                              ;   in Loop: Header=BB4_77 Depth=1
	ds_read_b32 v10, v0 offset:720
	s_waitcnt lgkmcnt(0)
	v_and_b32_e32 v10, 15, v10
	v_cmp_eq_u32_e32 vcc, 0, v10
	s_orn2_b64 s[40:41], vcc, exec
.LBB4_209:                              ;   in Loop: Header=BB4_77 Depth=1
	s_or_b64 exec, exec, s[42:43]
	s_and_saveexec_b64 s[42:43], s[20:21]
	s_cbranch_execz .LBB4_211
; %bb.210:                              ;   in Loop: Header=BB4_77 Depth=1
	ds_read_b32 v10, v0 offset:784
	s_waitcnt lgkmcnt(0)
	v_and_b32_e32 v10, 15, v10
	v_cmp_eq_u32_e32 vcc, 0, v10
	s_and_b64 s[44:45], s[40:41], vcc
	s_andn2_b64 s[40:41], s[40:41], exec
	s_and_b64 s[44:45], s[44:45], exec
	s_or_b64 s[40:41], s[40:41], s[44:45]
.LBB4_211:                              ;   in Loop: Header=BB4_77 Depth=1
	s_or_b64 exec, exec, s[42:43]
	s_xor_b64 s[40:41], s[40:41], -1
	v_cndmask_b32_e64 v10, 0, 1, s[40:41]
	s_mov_b64 s[42:43], -1
	v_mov_b32_e32 v83, 0
	v_cmp_ne_u32_e32 vcc, 0, v10
	v_mov_b32_e32 v98, v2
	v_mov_b32_e32 v99, v0
	;; [unrolled: 1-line block ×3, first 2 shown]
	s_cbranch_vccnz .LBB4_229
; %bb.212:                              ;   in Loop: Header=BB4_77 Depth=1
	v_ashrrev_i32_e32 v10, 31, v2
	v_lshrrev_b32_e32 v10, 22, v10
	v_add_u32_e32 v10, v2, v10
	v_and_b32_e32 v42, 0xfffffc00, v10
	v_sub_u32_e32 v45, v2, v42
	v_ashrrev_i32_e32 v11, 10, v10
	v_cmp_lt_i32_e64 s[40:41], 15, v45
	v_sub_u32_e32 v83, v2, v36
	s_nop 0
	v_addc_co_u32_e64 v44, vcc, v11, v40, s[40:41]
	v_cmp_lt_i32_e32 vcc, 15, v83
	s_and_saveexec_b64 s[94:95], vcc
	s_cbranch_execz .LBB4_218
; %bb.213:                              ;   in Loop: Header=BB4_77 Depth=1
	v_lshl_add_u64 v[98:99], v[84:85], 0, v[36:37]
	v_lshl_add_u64 v[100:101], v[86:87], 0, v[36:37]
	;; [unrolled: 1-line block ×3, first 2 shown]
	s_mov_b64 s[30:31], 0
.LBB4_214:                              ;   Parent Loop BB4_77 Depth=1
                                        ; =>  This Loop Header: Depth=2
                                        ;       Child Loop BB4_215 Depth 3
	global_load_dwordx4 v[10:13], v[98:99], off nt
	s_mov_b64 s[34:35], -1
	s_mov_b64 s[36:37], 0
	s_waitcnt vmcnt(0)
.LBB4_215:                              ;   Parent Loop BB4_77 Depth=1
                                        ;     Parent Loop BB4_214 Depth=2
                                        ; =>    This Inner Loop Header: Depth=3
	s_cmp_eq_u32 s36, 1
	s_cselect_b64 vcc, -1, 0
	v_cndmask_b32_e32 v47, v101, v103, vcc
	s_cmp_eq_u32 s36, 0
	v_cndmask_b32_e32 v46, v100, v102, vcc
	global_store_dwordx4 v[46:47], v[10:13], off
	v_lshl_add_u64 v[46:47], v[46:47], 0, s[62:63]
	s_cselect_b64 s[42:43], -1, 0
	s_and_b64 s[44:45], exec, s[34:35]
	s_mov_b64 s[36:37], 1
	s_mov_b64 s[34:35], 0
	v_cndmask_b32_e32 v103, v103, v47, vcc
	v_cndmask_b32_e32 v102, v102, v46, vcc
	v_cndmask_b32_e64 v101, v101, v47, s[42:43]
	v_cndmask_b32_e64 v100, v100, v46, s[42:43]
	s_mov_b64 vcc, s[44:45]
	s_cbranch_vccnz .LBB4_215
; %bb.216:                              ;   in Loop: Header=BB4_214 Depth=2
	v_sub_u32_e32 v83, v83, v117
	v_cmp_gt_i32_e32 vcc, 16, v83
	v_lshl_add_u64 v[100:101], v[100:101], 0, v[64:65]
	v_lshl_add_u64 v[102:103], v[102:103], 0, v[64:65]
	v_lshl_add_u64 v[98:99], v[70:71], 0, v[98:99]
	s_or_b64 s[30:31], vcc, s[30:31]
	v_sub_u32_e32 v44, v44, v34
	s_andn2_b64 exec, exec, s[30:31]
	s_cbranch_execnz .LBB4_214
; %bb.217:                              ;   in Loop: Header=BB4_77 Depth=1
	s_or_b64 exec, exec, s[30:31]
.LBB4_218:                              ;   in Loop: Header=BB4_77 Depth=1
	s_or_b64 exec, exec, s[94:95]
	v_and_b32_e32 v11, 15, v2
	v_cndmask_b32_e64 v43, v45, v11, s[40:41]
	v_mov_b32_e32 v83, 0
	v_cmp_ne_u32_e32 vcc, 0, v43
	s_mov_b64 s[42:43], 0
                                        ; implicit-def: $vgpr98
                                        ; implicit-def: $vgpr99
                                        ; implicit-def: $vgpr10
	s_and_saveexec_b64 s[94:95], vcc
	s_cbranch_execz .LBB4_228
; %bb.219:                              ;   in Loop: Header=BB4_77 Depth=1
	v_sub_u32_e32 v10, v45, v11
	v_cndmask_b32_e64 v10, 0, v10, s[40:41]
	v_cmp_lt_i32_e32 vcc, 0, v44
	v_add_u32_e32 v42, v10, v42
	s_nop 0
	v_cndmask_b32_e32 v10, 0, v34, vcc
	v_sub_u32_e32 v10, v10, v44
	v_lshl_add_u32 v10, v10, 6, v119
	v_ashrrev_i32_e32 v11, 31, v10
	v_lshrrev_b32_e32 v11, 26, v11
	v_add_u32_e32 v11, v10, v11
	v_ashrrev_i32_e32 v12, 6, v11
	v_and_b32_e32 v11, 0xffffffc0, v11
	v_sub_u32_e32 v44, v10, v11
	v_ashrrev_i32_e32 v11, 31, v43
	v_lshrrev_b32_e32 v11, 22, v11
	v_add_u32_e32 v11, v43, v11
	v_and_b32_e32 v45, 0xfffffc00, v11
	v_lshlrev_b32_e32 v10, 4, v44
	v_sub_u32_e32 v47, v43, v45
	v_lshl_add_u32 v10, v12, 10, v10
	v_ashrrev_i32_e32 v13, 10, v11
	v_cmp_lt_i32_e64 s[40:41], 15, v47
	v_sub_u32_e32 v83, v43, v10
	s_nop 0
	v_addc_co_u32_e64 v11, vcc, 0, v13, s[40:41]
	v_sub_u32_e32 v46, v11, v12
	v_cmp_lt_i32_e32 vcc, 15, v83
	s_and_saveexec_b64 s[30:31], vcc
	s_cbranch_execz .LBB4_225
; %bb.220:                              ;   in Loop: Header=BB4_77 Depth=1
	v_add_u32_e32 v10, v10, v42
	v_ashrrev_i32_e32 v11, 31, v10
	v_lshl_add_u64 v[98:99], v[10:11], 0, v[84:85]
	v_lshl_add_u64 v[100:101], v[10:11], 0, v[86:87]
	;; [unrolled: 1-line block ×3, first 2 shown]
	s_mov_b64 s[34:35], 0
.LBB4_221:                              ;   Parent Loop BB4_77 Depth=1
                                        ; =>  This Loop Header: Depth=2
                                        ;       Child Loop BB4_222 Depth 3
	global_load_dwordx4 v[10:13], v[98:99], off nt
	s_mov_b64 s[36:37], -1
	s_mov_b64 s[38:39], 0
	s_waitcnt vmcnt(0)
.LBB4_222:                              ;   Parent Loop BB4_77 Depth=1
                                        ;     Parent Loop BB4_221 Depth=2
                                        ; =>    This Inner Loop Header: Depth=3
	s_cmp_eq_u32 s38, 1
	s_cselect_b64 vcc, -1, 0
	v_cndmask_b32_e32 v59, v101, v103, vcc
	s_cmp_eq_u32 s38, 0
	v_cndmask_b32_e32 v58, v100, v102, vcc
	global_store_dwordx4 v[58:59], v[10:13], off
	v_lshl_add_u64 v[58:59], v[58:59], 0, s[62:63]
	s_cselect_b64 s[42:43], -1, 0
	s_and_b64 s[44:45], exec, s[36:37]
	s_mov_b64 s[38:39], 1
	s_mov_b64 s[36:37], 0
	v_cndmask_b32_e32 v103, v103, v59, vcc
	v_cndmask_b32_e32 v102, v102, v58, vcc
	v_cndmask_b32_e64 v101, v101, v59, s[42:43]
	v_cndmask_b32_e64 v100, v100, v58, s[42:43]
	s_mov_b64 vcc, s[44:45]
	s_cbranch_vccnz .LBB4_222
; %bb.223:                              ;   in Loop: Header=BB4_221 Depth=2
	v_sub_u32_e32 v83, v83, v117
	v_cmp_gt_i32_e32 vcc, 16, v83
	v_lshl_add_u64 v[100:101], v[100:101], 0, v[64:65]
	v_lshl_add_u64 v[102:103], v[102:103], 0, v[64:65]
	;; [unrolled: 1-line block ×3, first 2 shown]
	s_or_b64 s[34:35], vcc, s[34:35]
	v_sub_u32_e32 v46, v46, v34
	s_andn2_b64 exec, exec, s[34:35]
	s_cbranch_execnz .LBB4_221
; %bb.224:                              ;   in Loop: Header=BB4_77 Depth=1
	s_or_b64 exec, exec, s[34:35]
.LBB4_225:                              ;   in Loop: Header=BB4_77 Depth=1
	s_or_b64 exec, exec, s[30:31]
	v_and_b32_e32 v11, 15, v43
	v_cndmask_b32_e64 v98, v47, v11, s[40:41]
	v_mov_b32_e32 v83, 0
	v_cmp_ne_u32_e32 vcc, 0, v98
	s_mov_b64 s[42:43], 0
                                        ; implicit-def: $vgpr99
                                        ; implicit-def: $vgpr10
	s_and_saveexec_b64 s[44:45], vcc
	s_cbranch_execz .LBB4_227
; %bb.226:                              ;   in Loop: Header=BB4_77 Depth=1
	v_sub_u32_e32 v10, v47, v11
	v_cndmask_b32_e64 v10, 0, v10, s[40:41]
	v_cmp_lt_i32_e32 vcc, 0, v46
	v_add3_u32 v83, v45, v42, v10
	s_mov_b64 s[42:43], exec
	v_cndmask_b32_e32 v10, 0, v34, vcc
	v_sub_u32_e32 v10, v10, v46
	v_lshl_add_u32 v99, v10, 6, v44
	v_ashrrev_i32_e32 v10, 31, v99
	v_lshrrev_b32_e32 v10, 26, v10
	v_add_u32_e32 v10, v99, v10
	v_ashrrev_i32_e32 v10, 6, v10
.LBB4_227:                              ;   in Loop: Header=BB4_77 Depth=1
	s_or_b64 exec, exec, s[44:45]
	s_and_b64 s[42:43], s[42:43], exec
.LBB4_228:                              ;   in Loop: Header=BB4_77 Depth=1
	s_or_b64 exec, exec, s[94:95]
.LBB4_229:                              ;   in Loop: Header=BB4_77 Depth=1
	s_and_saveexec_b64 s[44:45], s[42:43]
	s_cbranch_execz .LBB4_240
; %bb.230:                              ;   in Loop: Header=BB4_77 Depth=1
	v_ashrrev_i32_e32 v11, 31, v98
	v_lshrrev_b32_e32 v11, 23, v11
	v_add_u32_e32 v11, v98, v11
	v_ashrrev_i32_e32 v102, 9, v11
	v_sub_u32_e32 v100, v102, v10
	v_ashrrev_i32_e32 v11, 31, v99
	v_cmp_lt_i32_e32 vcc, 0, v100
	v_lshrrev_b32_e32 v101, 26, v11
	s_and_saveexec_b64 s[40:41], vcc
	s_cbranch_execz .LBB4_234
; %bb.231:                              ;   in Loop: Header=BB4_77 Depth=1
	v_add_u32_e32 v11, v99, v101
	v_and_b32_e32 v11, 0xffffffc0, v11
	v_sub_u32_e32 v11, v99, v11
	v_lshlrev_b32_e32 v10, 9, v10
	v_add3_u32 v42, v83, v11, v10
	v_ashrrev_i32_e32 v43, 31, v42
	v_lshl_add_u64 v[12:13], v[42:43], 0, v[96:97]
	v_lshl_add_u64 v[96:97], v[84:85], 0, s[74:75]
	;; [unrolled: 1-line block ×4, first 2 shown]
	s_mov_b64 s[42:43], 0
.LBB4_232:                              ;   Parent Loop BB4_77 Depth=1
                                        ; =>  This Inner Loop Header: Depth=2
	v_add_co_u32_e32 v42, vcc, 0xfffffe40, v96
	flat_load_ubyte v103, v[96:97] nt
	s_nop 0
	v_addc_co_u32_e32 v43, vcc, -1, v97, vcc
	v_add_co_u32_e32 v44, vcc, 0xfffffe80, v96
	flat_load_ubyte v46, v[42:43] nt
	s_nop 0
	v_addc_co_u32_e32 v45, vcc, -1, v97, vcc
	;; [unrolled: 4-line block ×7, first 2 shown]
	flat_load_ubyte v42, v[42:43] nt
	v_sub_u32_e32 v100, v100, v34
	v_cmp_gt_i32_e32 vcc, 1, v100
	s_or_b64 s[42:43], vcc, s[42:43]
	v_lshl_add_u64 v[96:97], v[96:97], 0, v[50:51]
	s_waitcnt vmcnt(0) lgkmcnt(0)
	flat_store_byte v[10:11], v103 offset:448 nt
	flat_store_byte v[10:11], v46 nt
	flat_store_byte v[10:11], v47 offset:64 nt
	flat_store_byte v[10:11], v58 offset:128 nt
	;; [unrolled: 1-line block ×6, first 2 shown]
	flat_store_byte v[12:13], v46 nt
	flat_store_byte v[12:13], v47 offset:64 nt
	flat_store_byte v[12:13], v58 offset:128 nt
	;; [unrolled: 1-line block ×7, first 2 shown]
	v_lshl_add_u64 v[10:11], v[10:11], 0, v[50:51]
	v_lshl_add_u64 v[12:13], v[12:13], 0, v[50:51]
	s_andn2_b64 exec, exec, s[42:43]
	s_cbranch_execnz .LBB4_232
; %bb.233:                              ;   in Loop: Header=BB4_77 Depth=1
	s_or_b64 exec, exec, s[42:43]
.LBB4_234:                              ;   in Loop: Header=BB4_77 Depth=1
	s_or_b64 exec, exec, s[40:41]
	v_lshlrev_b32_e32 v10, 9, v102
	v_cmp_ne_u32_e32 vcc, v98, v10
	s_and_b64 exec, exec, vcc
	s_cbranch_execz .LBB4_240
; %bb.235:                              ;   in Loop: Header=BB4_77 Depth=1
	v_add_u32_e32 v11, v99, v101
	v_and_b32_e32 v11, 0xffffffc0, v11
	v_sub_u32_e32 v11, v99, v11
	v_lshlrev_b32_e32 v12, 6, v100
	v_sub_u32_e32 v11, v11, v12
	v_add_u32_e32 v10, v10, v11
	v_sub_u32_e32 v98, v98, v10
	v_cmp_lt_i32_e32 vcc, 0, v98
	s_and_b64 exec, exec, vcc
	s_cbranch_execz .LBB4_240
; %bb.236:                              ;   in Loop: Header=BB4_77 Depth=1
	s_trap 2
	ds_read_b64 v[12:13], v0
	ds_read_b128 v[100:103], v0
	v_add_u32_e32 v96, v10, v83
	v_ashrrev_i32_e32 v97, 31, v96
	s_mov_b64 s[94:95], 0
	s_waitcnt lgkmcnt(0)
	v_lshl_add_u64 v[10:11], v[12:13], 0, v[96:97]
	v_lshl_add_u64 v[12:13], v[100:101], 0, v[96:97]
	;; [unrolled: 1-line block ×3, first 2 shown]
.LBB4_237:                              ;   Parent Loop BB4_77 Depth=1
                                        ; =>  This Loop Header: Depth=2
                                        ;       Child Loop BB4_238 Depth 3
	flat_load_ubyte v83, v[10:11] nt
	s_mov_b64 s[30:31], -1
	s_mov_b64 s[34:35], 0
	s_waitcnt vmcnt(0)
.LBB4_238:                              ;   Parent Loop BB4_77 Depth=1
                                        ;     Parent Loop BB4_237 Depth=2
                                        ; =>    This Inner Loop Header: Depth=3
	s_cmp_eq_u32 s34, 1
	s_cselect_b64 vcc, -1, 0
	v_cndmask_b32_e32 v101, v13, v97, vcc
	s_cmp_eq_u32 s34, 0
	v_cndmask_b32_e32 v100, v12, v96, vcc
	s_waitcnt lgkmcnt(0)
	flat_store_byte v[100:101], v83 nt
	v_lshl_add_u64 v[100:101], v[100:101], 0, 64
	s_cselect_b64 s[40:41], -1, 0
	s_and_b64 s[42:43], exec, s[30:31]
	s_mov_b64 s[34:35], 1
	s_mov_b64 s[30:31], 0
	v_cndmask_b32_e32 v97, v97, v101, vcc
	v_cndmask_b32_e32 v96, v96, v100, vcc
	v_cndmask_b32_e64 v13, v13, v101, s[40:41]
	v_cndmask_b32_e64 v12, v12, v100, s[40:41]
	s_mov_b64 vcc, s[42:43]
	s_cbranch_vccnz .LBB4_238
; %bb.239:                              ;   in Loop: Header=BB4_237 Depth=2
	v_sub_u32_e32 v98, v98, v113
	v_cmp_gt_i32_e32 vcc, 1, v98
	v_lshl_add_u64 v[12:13], v[12:13], 0, v[52:53]
	v_lshl_add_u64 v[96:97], v[96:97], 0, v[52:53]
	s_or_b64 s[94:95], vcc, s[94:95]
	v_lshl_add_u64 v[10:11], v[68:69], 0, v[10:11]
	s_andn2_b64 exec, exec, s[94:95]
	s_cbranch_execnz .LBB4_237
.LBB4_240:                              ;   in Loop: Header=BB4_77 Depth=1
	s_or_b64 exec, exec, s[44:45]
	s_mov_b64 s[40:41], 0
.LBB4_241:                              ;   in Loop: Header=BB4_77 Depth=1
	s_and_b64 vcc, exec, s[40:41]
	s_cbranch_vccz .LBB4_270
; %bb.242:                              ;   in Loop: Header=BB4_77 Depth=1
	s_mov_b64 s[40:41], -1
	s_and_saveexec_b64 s[42:43], s[18:19]
	s_cbranch_execz .LBB4_244
; %bb.243:                              ;   in Loop: Header=BB4_77 Depth=1
	ds_read_b32 v10, v0 offset:720
	s_waitcnt lgkmcnt(0)
	v_and_b32_e32 v10, 15, v10
	v_cmp_eq_u32_e32 vcc, 0, v10
	s_orn2_b64 s[40:41], vcc, exec
.LBB4_244:                              ;   in Loop: Header=BB4_77 Depth=1
	s_or_b64 exec, exec, s[42:43]
	s_and_saveexec_b64 s[42:43], s[22:23]
	s_cbranch_execz .LBB4_246
; %bb.245:                              ;   in Loop: Header=BB4_77 Depth=1
	ds_read_b32 v10, v0 offset:784
	s_waitcnt lgkmcnt(0)
	v_and_b32_e32 v10, 15, v10
	v_cmp_eq_u32_e32 vcc, 0, v10
	s_and_b64 s[44:45], s[40:41], vcc
	s_andn2_b64 s[40:41], s[40:41], exec
	s_and_b64 s[44:45], s[44:45], exec
	s_or_b64 s[40:41], s[40:41], s[44:45]
.LBB4_246:                              ;   in Loop: Header=BB4_77 Depth=1
	s_or_b64 exec, exec, s[42:43]
	s_xor_b64 s[40:41], s[40:41], -1
	v_cndmask_b32_e64 v10, 0, 1, s[40:41]
	s_mov_b64 s[44:45], -1
	v_mov_b32_e32 v12, 0
	v_cmp_ne_u32_e32 vcc, 0, v10
	v_mov_b32_e32 v13, v2
	v_mov_b32_e32 v83, v0
	;; [unrolled: 1-line block ×3, first 2 shown]
	s_cbranch_vccnz .LBB4_260
; %bb.247:                              ;   in Loop: Header=BB4_77 Depth=1
	v_ashrrev_i32_e32 v10, 31, v2
	v_lshrrev_b32_e32 v10, 21, v10
	v_add_u32_e32 v10, v2, v10
	v_ashrrev_i32_e32 v12, 11, v10
	v_sub_u32_e32 v97, v12, v118
	v_cmp_lt_i32_e32 vcc, 0, v97
	s_and_saveexec_b64 s[40:41], vcc
	s_cbranch_execz .LBB4_251
; %bb.248:                              ;   in Loop: Header=BB4_77 Depth=1
	s_mov_b64 s[42:43], 0
	v_mov_b64_e32 v[10:11], v[80:81]
.LBB4_249:                              ;   Parent Loop BB4_77 Depth=1
                                        ; =>  This Inner Loop Header: Depth=2
	v_lshl_add_u64 v[102:103], v[84:85], 0, v[10:11]
	global_load_dwordx4 v[98:101], v[102:103], off nt
	global_load_dwordx4 v[42:45], v[102:103], off offset:1024 nt
	v_sub_u32_e32 v97, v97, v34
	v_cmp_gt_i32_e32 vcc, 1, v97
	v_lshl_add_u64 v[102:103], v[86:87], 0, v[10:11]
	v_lshl_add_u64 v[10:11], v[10:11], 0, v[54:55]
	s_or_b64 s[42:43], vcc, s[42:43]
	s_waitcnt vmcnt(0)
	global_store_dwordx4 v[102:103], v[98:101], off
	global_store_dwordx4 v[102:103], v[42:45], off offset:1024
	s_andn2_b64 exec, exec, s[42:43]
	s_cbranch_execnz .LBB4_249
; %bb.250:                              ;   in Loop: Header=BB4_77 Depth=1
	s_or_b64 exec, exec, s[42:43]
.LBB4_251:                              ;   in Loop: Header=BB4_77 Depth=1
	s_or_b64 exec, exec, s[40:41]
	v_lshlrev_b32_e32 v96, 11, v12
	v_cmp_ne_u32_e32 vcc, v2, v96
	s_mov_b64 s[44:45], 0
	v_mov_b32_e32 v12, 0
                                        ; implicit-def: $vgpr13
                                        ; implicit-def: $vgpr83
                                        ; implicit-def: $vgpr10
	s_and_saveexec_b64 s[42:43], vcc
	s_cbranch_execz .LBB4_259
; %bb.252:                              ;   in Loop: Header=BB4_77 Depth=1
	v_lshlrev_b32_e32 v10, 6, v97
	v_sub_u32_e32 v10, v119, v10
	v_sub_u32_e32 v11, v2, v96
	v_ashrrev_i32_e32 v12, 31, v10
	v_lshrrev_b32_e32 v12, 26, v12
	v_ashrrev_i32_e32 v83, 31, v11
	v_add_u32_e32 v12, v10, v12
	v_lshrrev_b32_e32 v83, 22, v83
	v_ashrrev_i32_e32 v13, 6, v12
	v_and_b32_e32 v12, 0xffffffc0, v12
	v_add_u32_e32 v83, v11, v83
	v_sub_u32_e32 v97, v10, v12
	v_and_b32_e32 v98, 0xfffffc00, v83
	v_lshlrev_b32_e32 v10, 4, v97
	v_sub_u32_e32 v100, v11, v98
	v_lshl_add_u32 v10, v13, 10, v10
	v_ashrrev_i32_e32 v99, 10, v83
	v_cmp_lt_i32_e32 vcc, 15, v100
	v_sub_u32_e32 v12, v11, v10
	s_nop 0
	v_addc_co_u32_e64 v11, s[40:41], 0, v99, vcc
	v_sub_u32_e32 v99, v11, v13
	v_cmp_lt_i32_e64 s[40:41], 15, v12
	s_and_saveexec_b64 s[44:45], s[40:41]
	s_cbranch_execz .LBB4_256
; %bb.253:                              ;   in Loop: Header=BB4_77 Depth=1
	v_add_u32_e32 v10, v10, v96
	v_ashrrev_i32_e32 v11, 31, v10
	s_mov_b64 s[94:95], 0
.LBB4_254:                              ;   Parent Loop BB4_77 Depth=1
                                        ; =>  This Inner Loop Header: Depth=2
	v_lshl_add_u64 v[102:103], v[84:85], 0, v[10:11]
	global_load_dwordx4 v[42:45], v[102:103], off nt
	v_sub_u32_e32 v12, v12, v117
	v_cmp_gt_i32_e64 s[40:41], 16, v12
	v_lshl_add_u64 v[102:103], v[86:87], 0, v[10:11]
	v_sub_u32_e32 v99, v99, v34
	v_lshl_add_u64 v[10:11], v[10:11], 0, v[70:71]
	s_or_b64 s[94:95], s[40:41], s[94:95]
	s_waitcnt vmcnt(0)
	global_store_dwordx4 v[102:103], v[42:45], off
	s_andn2_b64 exec, exec, s[94:95]
	s_cbranch_execnz .LBB4_254
; %bb.255:                              ;   in Loop: Header=BB4_77 Depth=1
	s_or_b64 exec, exec, s[94:95]
.LBB4_256:                              ;   in Loop: Header=BB4_77 Depth=1
	s_or_b64 exec, exec, s[44:45]
	v_and_b32_e32 v11, 15, v2
	v_cndmask_b32_e32 v13, v100, v11, vcc
	v_mov_b32_e32 v12, 0
	v_cmp_ne_u32_e64 s[40:41], 0, v13
	s_mov_b64 s[44:45], 0
                                        ; implicit-def: $vgpr83
                                        ; implicit-def: $vgpr10
	s_and_saveexec_b64 s[94:95], s[40:41]
	s_cbranch_execz .LBB4_258
; %bb.257:                              ;   in Loop: Header=BB4_77 Depth=1
	v_sub_u32_e32 v10, v100, v11
	v_cndmask_b32_e32 v10, 0, v10, vcc
	v_cmp_lt_i32_e32 vcc, 0, v99
	v_add3_u32 v12, v98, v96, v10
	s_mov_b64 s[44:45], exec
	v_cndmask_b32_e32 v10, 0, v34, vcc
	v_sub_u32_e32 v10, v10, v99
	v_lshl_add_u32 v83, v10, 6, v97
	v_ashrrev_i32_e32 v10, 31, v83
	v_lshrrev_b32_e32 v10, 26, v10
	v_add_u32_e32 v10, v83, v10
	v_ashrrev_i32_e32 v10, 6, v10
.LBB4_258:                              ;   in Loop: Header=BB4_77 Depth=1
	s_or_b64 exec, exec, s[94:95]
	s_and_b64 s[44:45], s[44:45], exec
.LBB4_259:                              ;   in Loop: Header=BB4_77 Depth=1
	s_or_b64 exec, exec, s[42:43]
.LBB4_260:                              ;   in Loop: Header=BB4_77 Depth=1
	s_and_saveexec_b64 s[40:41], s[44:45]
	s_cbranch_execz .LBB4_269
; %bb.261:                              ;   in Loop: Header=BB4_77 Depth=1
	v_ashrrev_i32_e32 v11, 31, v13
	v_lshrrev_b32_e32 v11, 23, v11
	v_add_u32_e32 v11, v13, v11
	v_ashrrev_i32_e32 v98, 9, v11
	v_sub_u32_e32 v96, v98, v10
	v_ashrrev_i32_e32 v11, 31, v83
	v_cmp_lt_i32_e32 vcc, 0, v96
	v_lshrrev_b32_e32 v97, 26, v11
	s_and_saveexec_b64 s[42:43], vcc
	s_cbranch_execz .LBB4_265
; %bb.262:                              ;   in Loop: Header=BB4_77 Depth=1
	v_add_u32_e32 v11, v83, v97
	v_and_b32_e32 v11, 0xffffffc0, v11
	v_sub_u32_e32 v11, v83, v11
	v_lshlrev_b32_e32 v10, 9, v10
	v_add3_u32 v10, v12, v11, v10
	v_ashrrev_i32_e32 v11, 31, v10
	s_mov_b64 s[44:45], 0
.LBB4_263:                              ;   Parent Loop BB4_77 Depth=1
                                        ; =>  This Inner Loop Header: Depth=2
	v_lshl_add_u64 v[100:101], v[10:11], 0, v[84:85]
	flat_load_ubyte v99, v[100:101] nt
	flat_load_ubyte v102, v[100:101] offset:64 nt
	flat_load_ubyte v103, v[100:101] offset:128 nt
	;; [unrolled: 1-line block ×7, first 2 shown]
	v_sub_u32_e32 v96, v96, v34
	v_cmp_gt_i32_e32 vcc, 1, v96
	v_lshl_add_u64 v[100:101], v[10:11], 0, v[86:87]
	v_lshl_add_u64 v[84:85], v[84:85], 0, v[50:51]
	;; [unrolled: 1-line block ×3, first 2 shown]
	s_or_b64 s[44:45], vcc, s[44:45]
	s_waitcnt vmcnt(0) lgkmcnt(0)
	flat_store_byte v[100:101], v99 nt
	flat_store_byte v[100:101], v102 offset:64 nt
	flat_store_byte v[100:101], v103 offset:128 nt
	;; [unrolled: 1-line block ×7, first 2 shown]
	s_andn2_b64 exec, exec, s[44:45]
	s_cbranch_execnz .LBB4_263
; %bb.264:                              ;   in Loop: Header=BB4_77 Depth=1
	s_or_b64 exec, exec, s[44:45]
.LBB4_265:                              ;   in Loop: Header=BB4_77 Depth=1
	s_or_b64 exec, exec, s[42:43]
	v_lshlrev_b32_e32 v10, 9, v98
	v_cmp_ne_u32_e32 vcc, v13, v10
	s_and_b64 exec, exec, vcc
	s_cbranch_execz .LBB4_269
; %bb.266:                              ;   in Loop: Header=BB4_77 Depth=1
	v_add_u32_e32 v11, v83, v97
	v_and_b32_e32 v11, 0xffffffc0, v11
	v_sub_u32_e32 v11, v83, v11
	v_lshlrev_b32_e32 v83, 6, v96
	v_sub_u32_e32 v11, v11, v83
	v_add_u32_e32 v84, v10, v11
	v_sub_u32_e32 v83, v13, v84
	v_cmp_lt_i32_e32 vcc, 0, v83
	s_and_b64 exec, exec, vcc
	s_cbranch_execz .LBB4_269
; %bb.267:                              ;   in Loop: Header=BB4_77 Depth=1
	s_trap 2
	ds_read_b64 v[10:11], v0
	v_add_u32_e32 v12, v84, v12
	v_ashrrev_i32_e32 v13, 31, v12
	s_mov_b64 s[42:43], 0
.LBB4_268:                              ;   Parent Loop BB4_77 Depth=1
                                        ; =>  This Inner Loop Header: Depth=2
	s_waitcnt lgkmcnt(0)
	v_lshl_add_u64 v[84:85], v[10:11], 0, v[12:13]
	flat_load_ubyte v86, v[84:85] nt
	v_sub_u32_e32 v83, v83, v113
	v_cmp_gt_i32_e32 vcc, 1, v83
	v_lshl_add_u64 v[12:13], v[12:13], 0, v[68:69]
	s_or_b64 s[42:43], vcc, s[42:43]
	s_waitcnt vmcnt(0) lgkmcnt(0)
	flat_store_byte v[84:85], v86 nt
	s_andn2_b64 exec, exec, s[42:43]
	s_cbranch_execnz .LBB4_268
.LBB4_269:                              ;   in Loop: Header=BB4_77 Depth=1
	s_or_b64 exec, exec, s[40:41]
.LBB4_270:                              ;   in Loop: Header=BB4_77 Depth=1
	v_cmp_lt_i32_e64 s[40:41], 0, v2
	s_and_saveexec_b64 s[42:43], s[10:11]
	s_cbranch_execnz .LBB4_272
	s_branch .LBB4_376
.LBB4_271:                              ;   in Loop: Header=BB4_77 Depth=1
	s_mov_b64 s[40:41], 0
	s_and_saveexec_b64 s[42:43], s[10:11]
	s_cbranch_execz .LBB4_376
.LBB4_272:                              ;   in Loop: Header=BB4_77 Depth=1
	s_and_saveexec_b64 s[44:45], s[60:61]
	s_xor_b64 s[44:45], exec, s[44:45]
	s_cbranch_execz .LBB4_373
; %bb.273:                              ;   in Loop: Header=BB4_77 Depth=1
	s_and_saveexec_b64 s[94:95], s[16:17]
	s_cbranch_execz .LBB4_372
; %bb.274:                              ;   in Loop: Header=BB4_77 Depth=1
	s_mov_b64 s[34:35], exec
	v_mbcnt_lo_u32_b32 v2, s34, 0
	v_mbcnt_hi_u32_b32 v2, s35, v2
	v_cmp_eq_u32_e32 vcc, 0, v2
	s_waitcnt lgkmcnt(0)
	s_and_saveexec_b64 s[30:31], vcc
	s_cbranch_execz .LBB4_276
; %bb.275:                              ;   in Loop: Header=BB4_77 Depth=1
	s_bcnt1_i32_b64 vcc_lo, s[34:35]
	v_mov_b32_e32 v2, vcc_lo
	ds_add_u64 v0, v[2:3]
	s_trap 2
.LBB4_276:                              ;   in Loop: Header=BB4_77 Depth=1
	s_or_b64 exec, exec, s[30:31]
	s_trap 2
	ds_read_b64 v[10:11], v0
	s_waitcnt lgkmcnt(0)
	v_lshl_add_u64 v[26:27], v[26:27], 0, v[34:35]
	v_cmp_lt_u64_e32 vcc, v[10:11], v[26:27]
	s_and_saveexec_b64 s[30:31], vcc
	s_cbranch_execz .LBB4_371
; %bb.277:                              ;   in Loop: Header=BB4_77 Depth=1
	s_mov_b32 s52, 0
	s_mov_b64 s[34:35], 0
                                        ; implicit-def: $sgpr36_sgpr37
                                        ; implicit-def: $sgpr38_sgpr39
	s_branch .LBB4_279
.LBB4_278:                              ;   in Loop: Header=BB4_279 Depth=2
	s_or_b64 exec, exec, s[50:51]
	s_and_b64 vcc, exec, vcc
	s_or_b64 s[34:35], vcc, s[34:35]
	s_andn2_b64 vcc, s[36:37], exec
	s_and_b64 s[36:37], s[38:39], exec
	s_or_b64 s[36:37], vcc, s[36:37]
	s_andn2_b64 exec, exec, s[34:35]
	s_cbranch_execz .LBB4_369
.LBB4_279:                              ;   Parent Loop BB4_77 Depth=1
                                        ; =>  This Inner Loop Header: Depth=2
	s_add_i32 s52, s52, 1
	s_cmpk_lg_i32 s52, 0x2710
	s_cselect_b64 s[48:49], -1, 0
	s_and_b64 vcc, exec, s[48:49]
	s_cbranch_vccz .LBB4_281
; %bb.280:                              ;   in Loop: Header=BB4_279 Depth=2
	s_mov_b64 vcc, -1
	s_or_b64 s[38:39], s[38:39], exec
	s_and_saveexec_b64 s[50:51], s[48:49]
	s_cbranch_execz .LBB4_278
	s_branch .LBB4_282
.LBB4_281:                              ;   in Loop: Header=BB4_279 Depth=2
	s_trap 2
	ds_read_b64 v[10:11], v0
	s_andn2_b64 s[48:49], s[48:49], exec
	s_mov_b32 s52, 0
	s_waitcnt vmcnt(0) lgkmcnt(0)
	flat_load_dword v2, v[10:11] sc0 sc1
	s_waitcnt vmcnt(0) lgkmcnt(0)
	buffer_inv sc0 sc1
	v_cmp_eq_u32_e32 vcc, 0, v2
	s_and_b64 vcc, vcc, exec
	s_or_b64 s[48:49], s[48:49], vcc
	s_mov_b64 vcc, -1
	s_or_b64 s[38:39], s[38:39], exec
	s_and_saveexec_b64 s[50:51], s[48:49]
	s_cbranch_execz .LBB4_278
.LBB4_282:                              ;   in Loop: Header=BB4_279 Depth=2
	s_sleep 1
	s_trap 2
	ds_read_b64 v[10:11], v0
	s_waitcnt lgkmcnt(0)
	s_andn2_b64 s[38:39], s[38:39], exec
	v_cmp_ge_u64_e32 vcc, v[10:11], v[26:27]
	s_orn2_b64 vcc, vcc, exec
	s_branch .LBB4_278
.LBB4_283:                              ;   in Loop: Header=BB4_77 Depth=1
	s_or_b64 exec, exec, s[34:35]
	s_and_saveexec_b64 vcc, s[36:37]
	s_xor_b64 vcc, exec, vcc
	s_cbranch_execz .LBB4_285
; %bb.284:                              ;   in Loop: Header=BB4_77 Depth=1
	ds_write_b32 v0, v114
	s_trap 2
.LBB4_285:                              ;   in Loop: Header=BB4_77 Depth=1
	s_or_b64 exec, exec, s[30:31]
	;;#ASMSTART
	s_wakeup
	;;#ASMEND
.LBB4_286:                              ;   in Loop: Header=BB4_77 Depth=1
	s_or_b64 exec, exec, s[44:45]
.LBB4_287:                              ;   in Loop: Header=BB4_77 Depth=1
	s_andn2_saveexec_b64 s[42:43], s[42:43]
	s_cbranch_execz .LBB4_289
; %bb.288:                              ;   in Loop: Header=BB4_77 Depth=1
	s_waitcnt lgkmcnt(0)
	s_barrier
.LBB4_289:                              ;   in Loop: Header=BB4_77 Depth=1
	s_or_b64 exec, exec, s[42:43]
.LBB4_290:                              ;   in Loop: Header=BB4_77 Depth=1
	s_or_b64 exec, exec, s[40:41]
	s_trap 2
	ds_read_b64 v[84:85], v0
	s_waitcnt lgkmcnt(0)
	v_cmp_eq_u64_e32 vcc, 0, v[84:85]
	s_cbranch_vccnz .LBB4_357
; %bb.291:                              ;   in Loop: Header=BB4_77 Depth=1
	s_trap 2
	ds_read_b64 v[86:87], v0
	s_waitcnt lgkmcnt(0)
	v_cmp_eq_u64_e32 vcc, 0, v[86:87]
	s_cbranch_vccnz .LBB4_357
; %bb.292:                              ;   in Loop: Header=BB4_77 Depth=1
	s_trap 2
	ds_read_b64 v[96:97], v0
	v_cmp_eq_u32_e64 s[40:41], 0, v10
	s_waitcnt lgkmcnt(0)
	v_cmp_ne_u64_e32 vcc, 0, v[96:97]
	v_cndmask_b32_e64 v2, 0, v82, s[40:41]
	s_mov_b64 s[40:41], -1
	s_cbranch_vccz .LBB4_327
; %bb.293:                              ;   in Loop: Header=BB4_77 Depth=1
	s_and_saveexec_b64 s[42:43], s[22:23]
	s_cbranch_execz .LBB4_295
; %bb.294:                              ;   in Loop: Header=BB4_77 Depth=1
	ds_read_b32 v10, v0 offset:720
	s_waitcnt lgkmcnt(0)
	v_and_b32_e32 v10, 15, v10
	v_cmp_eq_u32_e32 vcc, 0, v10
	s_orn2_b64 s[40:41], vcc, exec
.LBB4_295:                              ;   in Loop: Header=BB4_77 Depth=1
	s_or_b64 exec, exec, s[42:43]
	s_and_saveexec_b64 s[42:43], s[20:21]
	s_cbranch_execz .LBB4_297
; %bb.296:                              ;   in Loop: Header=BB4_77 Depth=1
	ds_read_b32 v10, v0 offset:784
	s_waitcnt lgkmcnt(0)
	v_and_b32_e32 v10, 15, v10
	v_cmp_eq_u32_e32 vcc, 0, v10
	s_and_b64 s[44:45], s[40:41], vcc
	s_andn2_b64 s[40:41], s[40:41], exec
	s_and_b64 s[44:45], s[44:45], exec
	s_or_b64 s[40:41], s[40:41], s[44:45]
.LBB4_297:                              ;   in Loop: Header=BB4_77 Depth=1
	s_or_b64 exec, exec, s[42:43]
	s_xor_b64 s[40:41], s[40:41], -1
	v_cndmask_b32_e64 v10, 0, 1, s[40:41]
	s_mov_b64 s[42:43], -1
	v_mov_b32_e32 v83, 0
	v_cmp_ne_u32_e32 vcc, 0, v10
	v_mov_b32_e32 v98, v2
	v_mov_b32_e32 v99, v0
	;; [unrolled: 1-line block ×3, first 2 shown]
	s_cbranch_vccnz .LBB4_315
; %bb.298:                              ;   in Loop: Header=BB4_77 Depth=1
	v_ashrrev_i32_e32 v10, 31, v2
	v_lshrrev_b32_e32 v10, 22, v10
	v_add_u32_e32 v10, v2, v10
	v_and_b32_e32 v42, 0xfffffc00, v10
	v_sub_u32_e32 v45, v2, v42
	v_ashrrev_i32_e32 v11, 10, v10
	v_cmp_lt_i32_e64 s[40:41], 15, v45
	v_sub_u32_e32 v83, v2, v36
	s_nop 0
	v_addc_co_u32_e64 v44, vcc, v11, v40, s[40:41]
	v_cmp_lt_i32_e32 vcc, 15, v83
	s_and_saveexec_b64 s[30:31], vcc
	s_cbranch_execz .LBB4_304
; %bb.299:                              ;   in Loop: Header=BB4_77 Depth=1
	v_lshl_add_u64 v[98:99], v[84:85], 0, v[36:37]
	v_lshl_add_u64 v[100:101], v[86:87], 0, v[36:37]
	v_lshl_add_u64 v[102:103], v[96:97], 0, v[36:37]
	s_mov_b64 s[34:35], 0
.LBB4_300:                              ;   Parent Loop BB4_77 Depth=1
                                        ; =>  This Loop Header: Depth=2
                                        ;       Child Loop BB4_301 Depth 3
	global_load_dwordx4 v[10:13], v[98:99], off nt
	s_mov_b64 s[36:37], -1
	s_mov_b64 s[38:39], 0
	s_waitcnt vmcnt(0)
.LBB4_301:                              ;   Parent Loop BB4_77 Depth=1
                                        ;     Parent Loop BB4_300 Depth=2
                                        ; =>    This Inner Loop Header: Depth=3
	s_cmp_eq_u32 s38, 1
	s_cselect_b64 vcc, -1, 0
	v_cndmask_b32_e32 v47, v101, v103, vcc
	s_cmp_eq_u32 s38, 0
	v_cndmask_b32_e32 v46, v100, v102, vcc
	global_store_dwordx4 v[46:47], v[10:13], off
	v_lshl_add_u64 v[46:47], v[46:47], 0, s[62:63]
	s_cselect_b64 s[42:43], -1, 0
	s_and_b64 s[44:45], exec, s[36:37]
	s_mov_b64 s[38:39], 1
	s_mov_b64 s[36:37], 0
	v_cndmask_b32_e32 v103, v103, v47, vcc
	v_cndmask_b32_e32 v102, v102, v46, vcc
	v_cndmask_b32_e64 v101, v101, v47, s[42:43]
	v_cndmask_b32_e64 v100, v100, v46, s[42:43]
	s_mov_b64 vcc, s[44:45]
	s_cbranch_vccnz .LBB4_301
; %bb.302:                              ;   in Loop: Header=BB4_300 Depth=2
	v_sub_u32_e32 v83, v83, v117
	v_cmp_gt_i32_e32 vcc, 16, v83
	v_lshl_add_u64 v[100:101], v[100:101], 0, v[64:65]
	v_lshl_add_u64 v[102:103], v[102:103], 0, v[64:65]
	;; [unrolled: 1-line block ×3, first 2 shown]
	s_or_b64 s[34:35], vcc, s[34:35]
	v_sub_u32_e32 v44, v44, v34
	s_andn2_b64 exec, exec, s[34:35]
	s_cbranch_execnz .LBB4_300
; %bb.303:                              ;   in Loop: Header=BB4_77 Depth=1
	s_or_b64 exec, exec, s[34:35]
.LBB4_304:                              ;   in Loop: Header=BB4_77 Depth=1
	s_or_b64 exec, exec, s[30:31]
	v_and_b32_e32 v11, 15, v2
	v_cndmask_b32_e64 v43, v45, v11, s[40:41]
	v_mov_b32_e32 v83, 0
	v_cmp_ne_u32_e32 vcc, 0, v43
	s_mov_b64 s[42:43], 0
                                        ; implicit-def: $vgpr98
                                        ; implicit-def: $vgpr99
                                        ; implicit-def: $vgpr10
	s_and_saveexec_b64 s[30:31], vcc
	s_cbranch_execz .LBB4_314
; %bb.305:                              ;   in Loop: Header=BB4_77 Depth=1
	v_sub_u32_e32 v10, v45, v11
	v_cndmask_b32_e64 v10, 0, v10, s[40:41]
	v_cmp_lt_i32_e32 vcc, 0, v44
	v_add_u32_e32 v42, v10, v42
	s_nop 0
	v_cndmask_b32_e32 v10, 0, v34, vcc
	v_sub_u32_e32 v10, v10, v44
	v_lshl_add_u32 v10, v10, 6, v119
	v_ashrrev_i32_e32 v11, 31, v10
	v_lshrrev_b32_e32 v11, 26, v11
	v_add_u32_e32 v11, v10, v11
	v_ashrrev_i32_e32 v12, 6, v11
	v_and_b32_e32 v11, 0xffffffc0, v11
	v_sub_u32_e32 v44, v10, v11
	v_ashrrev_i32_e32 v11, 31, v43
	v_lshrrev_b32_e32 v11, 22, v11
	v_add_u32_e32 v11, v43, v11
	v_and_b32_e32 v45, 0xfffffc00, v11
	v_lshlrev_b32_e32 v10, 4, v44
	v_sub_u32_e32 v47, v43, v45
	v_lshl_add_u32 v10, v12, 10, v10
	v_ashrrev_i32_e32 v13, 10, v11
	v_cmp_lt_i32_e64 s[40:41], 15, v47
	v_sub_u32_e32 v83, v43, v10
	s_nop 0
	v_addc_co_u32_e64 v11, vcc, 0, v13, s[40:41]
	v_sub_u32_e32 v46, v11, v12
	v_cmp_lt_i32_e32 vcc, 15, v83
	s_and_saveexec_b64 s[34:35], vcc
	s_cbranch_execz .LBB4_311
; %bb.306:                              ;   in Loop: Header=BB4_77 Depth=1
	v_add_u32_e32 v10, v10, v42
	v_ashrrev_i32_e32 v11, 31, v10
	v_lshl_add_u64 v[98:99], v[10:11], 0, v[84:85]
	v_lshl_add_u64 v[100:101], v[10:11], 0, v[86:87]
	;; [unrolled: 1-line block ×3, first 2 shown]
	s_mov_b64 s[36:37], 0
.LBB4_307:                              ;   Parent Loop BB4_77 Depth=1
                                        ; =>  This Loop Header: Depth=2
                                        ;       Child Loop BB4_308 Depth 3
	global_load_dwordx4 v[10:13], v[98:99], off nt
	s_mov_b64 s[38:39], -1
	s_mov_b64 s[48:49], 0
	s_waitcnt vmcnt(0)
.LBB4_308:                              ;   Parent Loop BB4_77 Depth=1
                                        ;     Parent Loop BB4_307 Depth=2
                                        ; =>    This Inner Loop Header: Depth=3
	s_cmp_eq_u32 s48, 1
	s_cselect_b64 vcc, -1, 0
	v_cndmask_b32_e32 v59, v101, v103, vcc
	s_cmp_eq_u32 s48, 0
	v_cndmask_b32_e32 v58, v100, v102, vcc
	global_store_dwordx4 v[58:59], v[10:13], off
	v_lshl_add_u64 v[58:59], v[58:59], 0, s[62:63]
	s_cselect_b64 s[42:43], -1, 0
	s_and_b64 s[44:45], exec, s[38:39]
	s_mov_b64 s[48:49], 1
	s_mov_b64 s[38:39], 0
	v_cndmask_b32_e32 v103, v103, v59, vcc
	v_cndmask_b32_e32 v102, v102, v58, vcc
	v_cndmask_b32_e64 v101, v101, v59, s[42:43]
	v_cndmask_b32_e64 v100, v100, v58, s[42:43]
	s_mov_b64 vcc, s[44:45]
	s_cbranch_vccnz .LBB4_308
; %bb.309:                              ;   in Loop: Header=BB4_307 Depth=2
	v_sub_u32_e32 v83, v83, v117
	v_cmp_gt_i32_e32 vcc, 16, v83
	v_lshl_add_u64 v[100:101], v[100:101], 0, v[64:65]
	v_lshl_add_u64 v[102:103], v[102:103], 0, v[64:65]
	;; [unrolled: 1-line block ×3, first 2 shown]
	s_or_b64 s[36:37], vcc, s[36:37]
	v_sub_u32_e32 v46, v46, v34
	s_andn2_b64 exec, exec, s[36:37]
	s_cbranch_execnz .LBB4_307
; %bb.310:                              ;   in Loop: Header=BB4_77 Depth=1
	s_or_b64 exec, exec, s[36:37]
.LBB4_311:                              ;   in Loop: Header=BB4_77 Depth=1
	s_or_b64 exec, exec, s[34:35]
	v_and_b32_e32 v11, 15, v43
	v_cndmask_b32_e64 v98, v47, v11, s[40:41]
	v_mov_b32_e32 v83, 0
	v_cmp_ne_u32_e32 vcc, 0, v98
	s_mov_b64 s[42:43], 0
                                        ; implicit-def: $vgpr99
                                        ; implicit-def: $vgpr10
	s_and_saveexec_b64 s[44:45], vcc
	s_cbranch_execz .LBB4_313
; %bb.312:                              ;   in Loop: Header=BB4_77 Depth=1
	v_sub_u32_e32 v10, v47, v11
	v_cndmask_b32_e64 v10, 0, v10, s[40:41]
	v_cmp_lt_i32_e32 vcc, 0, v46
	v_add3_u32 v83, v45, v42, v10
	s_mov_b64 s[42:43], exec
	v_cndmask_b32_e32 v10, 0, v34, vcc
	v_sub_u32_e32 v10, v10, v46
	v_lshl_add_u32 v99, v10, 6, v44
	v_ashrrev_i32_e32 v10, 31, v99
	v_lshrrev_b32_e32 v10, 26, v10
	v_add_u32_e32 v10, v99, v10
	v_ashrrev_i32_e32 v10, 6, v10
.LBB4_313:                              ;   in Loop: Header=BB4_77 Depth=1
	s_or_b64 exec, exec, s[44:45]
	s_and_b64 s[42:43], s[42:43], exec
.LBB4_314:                              ;   in Loop: Header=BB4_77 Depth=1
	s_or_b64 exec, exec, s[30:31]
.LBB4_315:                              ;   in Loop: Header=BB4_77 Depth=1
	s_and_saveexec_b64 s[44:45], s[42:43]
	s_cbranch_execz .LBB4_326
; %bb.316:                              ;   in Loop: Header=BB4_77 Depth=1
	v_ashrrev_i32_e32 v11, 31, v98
	v_lshrrev_b32_e32 v11, 23, v11
	v_add_u32_e32 v11, v98, v11
	v_ashrrev_i32_e32 v102, 9, v11
	v_sub_u32_e32 v100, v102, v10
	v_ashrrev_i32_e32 v11, 31, v99
	v_cmp_lt_i32_e32 vcc, 0, v100
	v_lshrrev_b32_e32 v101, 26, v11
	s_and_saveexec_b64 s[40:41], vcc
	s_cbranch_execz .LBB4_320
; %bb.317:                              ;   in Loop: Header=BB4_77 Depth=1
	v_add_u32_e32 v11, v99, v101
	v_and_b32_e32 v11, 0xffffffc0, v11
	v_sub_u32_e32 v11, v99, v11
	v_lshlrev_b32_e32 v10, 9, v10
	v_add3_u32 v42, v83, v11, v10
	v_ashrrev_i32_e32 v43, 31, v42
	v_lshl_add_u64 v[12:13], v[42:43], 0, v[96:97]
	v_lshl_add_u64 v[96:97], v[84:85], 0, s[74:75]
	;; [unrolled: 1-line block ×4, first 2 shown]
	s_mov_b64 s[42:43], 0
.LBB4_318:                              ;   Parent Loop BB4_77 Depth=1
                                        ; =>  This Inner Loop Header: Depth=2
	v_add_co_u32_e32 v42, vcc, 0xfffffe40, v96
	flat_load_ubyte v103, v[96:97] nt
	s_nop 0
	v_addc_co_u32_e32 v43, vcc, -1, v97, vcc
	v_add_co_u32_e32 v44, vcc, 0xfffffe80, v96
	flat_load_ubyte v46, v[42:43] nt
	s_nop 0
	v_addc_co_u32_e32 v45, vcc, -1, v97, vcc
	;; [unrolled: 4-line block ×7, first 2 shown]
	flat_load_ubyte v42, v[42:43] nt
	v_sub_u32_e32 v100, v100, v34
	v_cmp_gt_i32_e32 vcc, 1, v100
	s_or_b64 s[42:43], vcc, s[42:43]
	v_lshl_add_u64 v[96:97], v[96:97], 0, v[50:51]
	s_waitcnt vmcnt(0) lgkmcnt(0)
	flat_store_byte v[10:11], v103 offset:448 nt
	flat_store_byte v[10:11], v46 nt
	flat_store_byte v[10:11], v47 offset:64 nt
	flat_store_byte v[10:11], v58 offset:128 nt
	;; [unrolled: 1-line block ×6, first 2 shown]
	flat_store_byte v[12:13], v46 nt
	flat_store_byte v[12:13], v47 offset:64 nt
	flat_store_byte v[12:13], v58 offset:128 nt
	;; [unrolled: 1-line block ×7, first 2 shown]
	v_lshl_add_u64 v[10:11], v[10:11], 0, v[50:51]
	v_lshl_add_u64 v[12:13], v[12:13], 0, v[50:51]
	s_andn2_b64 exec, exec, s[42:43]
	s_cbranch_execnz .LBB4_318
; %bb.319:                              ;   in Loop: Header=BB4_77 Depth=1
	s_or_b64 exec, exec, s[42:43]
.LBB4_320:                              ;   in Loop: Header=BB4_77 Depth=1
	s_or_b64 exec, exec, s[40:41]
	v_lshlrev_b32_e32 v10, 9, v102
	v_cmp_ne_u32_e32 vcc, v98, v10
	s_and_b64 exec, exec, vcc
	s_cbranch_execz .LBB4_326
; %bb.321:                              ;   in Loop: Header=BB4_77 Depth=1
	v_add_u32_e32 v11, v99, v101
	v_and_b32_e32 v11, 0xffffffc0, v11
	v_sub_u32_e32 v11, v99, v11
	v_lshlrev_b32_e32 v12, 6, v100
	v_sub_u32_e32 v11, v11, v12
	v_add_u32_e32 v10, v10, v11
	v_sub_u32_e32 v98, v98, v10
	v_cmp_lt_i32_e32 vcc, 0, v98
	s_and_b64 exec, exec, vcc
	s_cbranch_execz .LBB4_326
; %bb.322:                              ;   in Loop: Header=BB4_77 Depth=1
	s_trap 2
	ds_read_b64 v[12:13], v0
	ds_read_b128 v[100:103], v0
	v_add_u32_e32 v96, v10, v83
	v_ashrrev_i32_e32 v97, 31, v96
	s_mov_b64 s[30:31], 0
	s_waitcnt lgkmcnt(0)
	v_lshl_add_u64 v[10:11], v[12:13], 0, v[96:97]
	v_lshl_add_u64 v[12:13], v[100:101], 0, v[96:97]
	;; [unrolled: 1-line block ×3, first 2 shown]
.LBB4_323:                              ;   Parent Loop BB4_77 Depth=1
                                        ; =>  This Loop Header: Depth=2
                                        ;       Child Loop BB4_324 Depth 3
	flat_load_ubyte v83, v[10:11] nt
	s_mov_b64 s[34:35], -1
	s_mov_b64 s[36:37], 0
	s_waitcnt vmcnt(0)
.LBB4_324:                              ;   Parent Loop BB4_77 Depth=1
                                        ;     Parent Loop BB4_323 Depth=2
                                        ; =>    This Inner Loop Header: Depth=3
	s_cmp_eq_u32 s36, 1
	s_cselect_b64 vcc, -1, 0
	v_cndmask_b32_e32 v101, v13, v97, vcc
	s_cmp_eq_u32 s36, 0
	v_cndmask_b32_e32 v100, v12, v96, vcc
	s_waitcnt lgkmcnt(0)
	flat_store_byte v[100:101], v83 nt
	v_lshl_add_u64 v[100:101], v[100:101], 0, 64
	s_cselect_b64 s[40:41], -1, 0
	s_and_b64 s[42:43], exec, s[34:35]
	s_mov_b64 s[36:37], 1
	s_mov_b64 s[34:35], 0
	v_cndmask_b32_e32 v97, v97, v101, vcc
	v_cndmask_b32_e32 v96, v96, v100, vcc
	v_cndmask_b32_e64 v13, v13, v101, s[40:41]
	v_cndmask_b32_e64 v12, v12, v100, s[40:41]
	s_mov_b64 vcc, s[42:43]
	s_cbranch_vccnz .LBB4_324
; %bb.325:                              ;   in Loop: Header=BB4_323 Depth=2
	v_sub_u32_e32 v98, v98, v113
	v_cmp_gt_i32_e32 vcc, 1, v98
	v_lshl_add_u64 v[12:13], v[12:13], 0, v[52:53]
	v_lshl_add_u64 v[96:97], v[96:97], 0, v[52:53]
	s_or_b64 s[30:31], vcc, s[30:31]
	v_lshl_add_u64 v[10:11], v[68:69], 0, v[10:11]
	s_andn2_b64 exec, exec, s[30:31]
	s_cbranch_execnz .LBB4_323
.LBB4_326:                              ;   in Loop: Header=BB4_77 Depth=1
	s_or_b64 exec, exec, s[44:45]
	s_mov_b64 s[40:41], 0
.LBB4_327:                              ;   in Loop: Header=BB4_77 Depth=1
	s_and_b64 vcc, exec, s[40:41]
	s_cbranch_vccz .LBB4_356
; %bb.328:                              ;   in Loop: Header=BB4_77 Depth=1
	s_mov_b64 s[40:41], -1
	s_and_saveexec_b64 s[42:43], s[22:23]
	s_cbranch_execz .LBB4_330
; %bb.329:                              ;   in Loop: Header=BB4_77 Depth=1
	ds_read_b32 v10, v0 offset:720
	s_waitcnt lgkmcnt(0)
	v_and_b32_e32 v10, 15, v10
	v_cmp_eq_u32_e32 vcc, 0, v10
	s_orn2_b64 s[40:41], vcc, exec
.LBB4_330:                              ;   in Loop: Header=BB4_77 Depth=1
	s_or_b64 exec, exec, s[42:43]
	s_and_saveexec_b64 s[42:43], s[22:23]
	s_cbranch_execz .LBB4_332
; %bb.331:                              ;   in Loop: Header=BB4_77 Depth=1
	ds_read_b32 v10, v0 offset:784
	s_waitcnt lgkmcnt(0)
	v_and_b32_e32 v10, 15, v10
	v_cmp_eq_u32_e32 vcc, 0, v10
	s_and_b64 s[44:45], s[40:41], vcc
	s_andn2_b64 s[40:41], s[40:41], exec
	s_and_b64 s[44:45], s[44:45], exec
	s_or_b64 s[40:41], s[40:41], s[44:45]
.LBB4_332:                              ;   in Loop: Header=BB4_77 Depth=1
	s_or_b64 exec, exec, s[42:43]
	s_xor_b64 s[40:41], s[40:41], -1
	v_cndmask_b32_e64 v10, 0, 1, s[40:41]
	s_mov_b64 s[44:45], -1
	v_mov_b32_e32 v12, 0
	v_cmp_ne_u32_e32 vcc, 0, v10
	v_mov_b32_e32 v13, v2
	v_mov_b32_e32 v83, v0
	;; [unrolled: 1-line block ×3, first 2 shown]
	s_cbranch_vccnz .LBB4_346
; %bb.333:                              ;   in Loop: Header=BB4_77 Depth=1
	v_ashrrev_i32_e32 v10, 31, v2
	v_lshrrev_b32_e32 v10, 21, v10
	v_add_u32_e32 v10, v2, v10
	v_ashrrev_i32_e32 v12, 11, v10
	v_sub_u32_e32 v97, v12, v118
	v_cmp_lt_i32_e32 vcc, 0, v97
	s_and_saveexec_b64 s[40:41], vcc
	s_cbranch_execz .LBB4_337
; %bb.334:                              ;   in Loop: Header=BB4_77 Depth=1
	s_mov_b64 s[42:43], 0
	v_mov_b64_e32 v[10:11], v[80:81]
.LBB4_335:                              ;   Parent Loop BB4_77 Depth=1
                                        ; =>  This Inner Loop Header: Depth=2
	v_lshl_add_u64 v[102:103], v[84:85], 0, v[10:11]
	global_load_dwordx4 v[98:101], v[102:103], off nt
	global_load_dwordx4 v[42:45], v[102:103], off offset:1024 nt
	v_sub_u32_e32 v97, v97, v34
	v_cmp_gt_i32_e32 vcc, 1, v97
	v_lshl_add_u64 v[102:103], v[86:87], 0, v[10:11]
	v_lshl_add_u64 v[10:11], v[10:11], 0, v[54:55]
	s_or_b64 s[42:43], vcc, s[42:43]
	s_waitcnt vmcnt(0)
	global_store_dwordx4 v[102:103], v[98:101], off
	global_store_dwordx4 v[102:103], v[42:45], off offset:1024
	s_andn2_b64 exec, exec, s[42:43]
	s_cbranch_execnz .LBB4_335
; %bb.336:                              ;   in Loop: Header=BB4_77 Depth=1
	s_or_b64 exec, exec, s[42:43]
.LBB4_337:                              ;   in Loop: Header=BB4_77 Depth=1
	s_or_b64 exec, exec, s[40:41]
	v_lshlrev_b32_e32 v96, 11, v12
	v_cmp_ne_u32_e32 vcc, v2, v96
	s_mov_b64 s[44:45], 0
	v_mov_b32_e32 v12, 0
                                        ; implicit-def: $vgpr13
                                        ; implicit-def: $vgpr83
                                        ; implicit-def: $vgpr10
	s_and_saveexec_b64 s[42:43], vcc
	s_cbranch_execz .LBB4_345
; %bb.338:                              ;   in Loop: Header=BB4_77 Depth=1
	v_lshlrev_b32_e32 v10, 6, v97
	v_sub_u32_e32 v10, v119, v10
	v_sub_u32_e32 v11, v2, v96
	v_ashrrev_i32_e32 v12, 31, v10
	v_lshrrev_b32_e32 v12, 26, v12
	v_ashrrev_i32_e32 v83, 31, v11
	v_add_u32_e32 v12, v10, v12
	v_lshrrev_b32_e32 v83, 22, v83
	v_ashrrev_i32_e32 v13, 6, v12
	v_and_b32_e32 v12, 0xffffffc0, v12
	v_add_u32_e32 v83, v11, v83
	v_sub_u32_e32 v97, v10, v12
	v_and_b32_e32 v98, 0xfffffc00, v83
	v_lshlrev_b32_e32 v10, 4, v97
	v_sub_u32_e32 v100, v11, v98
	v_lshl_add_u32 v10, v13, 10, v10
	v_ashrrev_i32_e32 v99, 10, v83
	v_cmp_lt_i32_e32 vcc, 15, v100
	v_sub_u32_e32 v12, v11, v10
	s_nop 0
	v_addc_co_u32_e64 v11, s[40:41], 0, v99, vcc
	v_sub_u32_e32 v99, v11, v13
	v_cmp_lt_i32_e64 s[40:41], 15, v12
	s_and_saveexec_b64 s[44:45], s[40:41]
	s_cbranch_execz .LBB4_342
; %bb.339:                              ;   in Loop: Header=BB4_77 Depth=1
	v_add_u32_e32 v10, v10, v96
	v_ashrrev_i32_e32 v11, 31, v10
	s_mov_b64 s[30:31], 0
.LBB4_340:                              ;   Parent Loop BB4_77 Depth=1
                                        ; =>  This Inner Loop Header: Depth=2
	v_lshl_add_u64 v[102:103], v[84:85], 0, v[10:11]
	global_load_dwordx4 v[42:45], v[102:103], off nt
	v_sub_u32_e32 v12, v12, v117
	v_cmp_gt_i32_e64 s[40:41], 16, v12
	v_lshl_add_u64 v[102:103], v[86:87], 0, v[10:11]
	v_sub_u32_e32 v99, v99, v34
	v_lshl_add_u64 v[10:11], v[10:11], 0, v[70:71]
	s_or_b64 s[30:31], s[40:41], s[30:31]
	s_waitcnt vmcnt(0)
	global_store_dwordx4 v[102:103], v[42:45], off
	s_andn2_b64 exec, exec, s[30:31]
	s_cbranch_execnz .LBB4_340
; %bb.341:                              ;   in Loop: Header=BB4_77 Depth=1
	s_or_b64 exec, exec, s[30:31]
.LBB4_342:                              ;   in Loop: Header=BB4_77 Depth=1
	s_or_b64 exec, exec, s[44:45]
	v_and_b32_e32 v11, 15, v2
	v_cndmask_b32_e32 v13, v100, v11, vcc
	v_mov_b32_e32 v12, 0
	v_cmp_ne_u32_e64 s[40:41], 0, v13
	s_mov_b64 s[44:45], 0
                                        ; implicit-def: $vgpr83
                                        ; implicit-def: $vgpr10
	s_and_saveexec_b64 s[30:31], s[40:41]
	s_cbranch_execz .LBB4_344
; %bb.343:                              ;   in Loop: Header=BB4_77 Depth=1
	v_sub_u32_e32 v10, v100, v11
	v_cndmask_b32_e32 v10, 0, v10, vcc
	v_cmp_lt_i32_e32 vcc, 0, v99
	v_add3_u32 v12, v98, v96, v10
	s_mov_b64 s[44:45], exec
	v_cndmask_b32_e32 v10, 0, v34, vcc
	v_sub_u32_e32 v10, v10, v99
	v_lshl_add_u32 v83, v10, 6, v97
	v_ashrrev_i32_e32 v10, 31, v83
	v_lshrrev_b32_e32 v10, 26, v10
	v_add_u32_e32 v10, v83, v10
	v_ashrrev_i32_e32 v10, 6, v10
.LBB4_344:                              ;   in Loop: Header=BB4_77 Depth=1
	s_or_b64 exec, exec, s[30:31]
	s_and_b64 s[44:45], s[44:45], exec
.LBB4_345:                              ;   in Loop: Header=BB4_77 Depth=1
	s_or_b64 exec, exec, s[42:43]
.LBB4_346:                              ;   in Loop: Header=BB4_77 Depth=1
	s_and_saveexec_b64 s[40:41], s[44:45]
	s_cbranch_execz .LBB4_355
; %bb.347:                              ;   in Loop: Header=BB4_77 Depth=1
	v_ashrrev_i32_e32 v11, 31, v13
	v_lshrrev_b32_e32 v11, 23, v11
	v_add_u32_e32 v11, v13, v11
	v_ashrrev_i32_e32 v98, 9, v11
	v_sub_u32_e32 v96, v98, v10
	v_ashrrev_i32_e32 v11, 31, v83
	v_cmp_lt_i32_e32 vcc, 0, v96
	v_lshrrev_b32_e32 v97, 26, v11
	s_and_saveexec_b64 s[42:43], vcc
	s_cbranch_execz .LBB4_351
; %bb.348:                              ;   in Loop: Header=BB4_77 Depth=1
	v_add_u32_e32 v11, v83, v97
	v_and_b32_e32 v11, 0xffffffc0, v11
	v_sub_u32_e32 v11, v83, v11
	v_lshlrev_b32_e32 v10, 9, v10
	v_add3_u32 v10, v12, v11, v10
	v_ashrrev_i32_e32 v11, 31, v10
	s_mov_b64 s[44:45], 0
.LBB4_349:                              ;   Parent Loop BB4_77 Depth=1
                                        ; =>  This Inner Loop Header: Depth=2
	v_lshl_add_u64 v[100:101], v[10:11], 0, v[84:85]
	flat_load_ubyte v99, v[100:101] nt
	flat_load_ubyte v102, v[100:101] offset:64 nt
	flat_load_ubyte v103, v[100:101] offset:128 nt
	;; [unrolled: 1-line block ×7, first 2 shown]
	v_sub_u32_e32 v96, v96, v34
	v_cmp_gt_i32_e32 vcc, 1, v96
	v_lshl_add_u64 v[100:101], v[10:11], 0, v[86:87]
	v_lshl_add_u64 v[84:85], v[84:85], 0, v[50:51]
	;; [unrolled: 1-line block ×3, first 2 shown]
	s_or_b64 s[44:45], vcc, s[44:45]
	s_waitcnt vmcnt(0) lgkmcnt(0)
	flat_store_byte v[100:101], v99 nt
	flat_store_byte v[100:101], v102 offset:64 nt
	flat_store_byte v[100:101], v103 offset:128 nt
	;; [unrolled: 1-line block ×7, first 2 shown]
	s_andn2_b64 exec, exec, s[44:45]
	s_cbranch_execnz .LBB4_349
; %bb.350:                              ;   in Loop: Header=BB4_77 Depth=1
	s_or_b64 exec, exec, s[44:45]
.LBB4_351:                              ;   in Loop: Header=BB4_77 Depth=1
	s_or_b64 exec, exec, s[42:43]
	v_lshlrev_b32_e32 v10, 9, v98
	v_cmp_ne_u32_e32 vcc, v13, v10
	s_and_b64 exec, exec, vcc
	s_cbranch_execz .LBB4_355
; %bb.352:                              ;   in Loop: Header=BB4_77 Depth=1
	v_add_u32_e32 v11, v83, v97
	v_and_b32_e32 v11, 0xffffffc0, v11
	v_sub_u32_e32 v11, v83, v11
	v_lshlrev_b32_e32 v83, 6, v96
	v_sub_u32_e32 v11, v11, v83
	v_add_u32_e32 v84, v10, v11
	v_sub_u32_e32 v83, v13, v84
	v_cmp_lt_i32_e32 vcc, 0, v83
	s_and_b64 exec, exec, vcc
	s_cbranch_execz .LBB4_355
; %bb.353:                              ;   in Loop: Header=BB4_77 Depth=1
	s_trap 2
	ds_read_b64 v[10:11], v0
	v_add_u32_e32 v12, v84, v12
	v_ashrrev_i32_e32 v13, 31, v12
	s_mov_b64 s[42:43], 0
.LBB4_354:                              ;   Parent Loop BB4_77 Depth=1
                                        ; =>  This Inner Loop Header: Depth=2
	s_waitcnt lgkmcnt(0)
	v_lshl_add_u64 v[84:85], v[10:11], 0, v[12:13]
	flat_load_ubyte v86, v[84:85] nt
	v_sub_u32_e32 v83, v83, v113
	v_cmp_gt_i32_e32 vcc, 1, v83
	v_lshl_add_u64 v[12:13], v[12:13], 0, v[68:69]
	s_or_b64 s[42:43], vcc, s[42:43]
	s_waitcnt vmcnt(0) lgkmcnt(0)
	flat_store_byte v[84:85], v86 nt
	s_andn2_b64 exec, exec, s[42:43]
	s_cbranch_execnz .LBB4_354
.LBB4_355:                              ;   in Loop: Header=BB4_77 Depth=1
	s_or_b64 exec, exec, s[40:41]
.LBB4_356:                              ;   in Loop: Header=BB4_77 Depth=1
	v_cmp_lt_i32_e64 s[40:41], 0, v2
	s_and_saveexec_b64 s[42:43], s[10:11]
	s_cbranch_execnz .LBB4_358
	s_branch .LBB4_399
.LBB4_357:                              ;   in Loop: Header=BB4_77 Depth=1
	s_mov_b64 s[40:41], 0
	s_and_saveexec_b64 s[42:43], s[10:11]
	s_cbranch_execz .LBB4_399
.LBB4_358:                              ;   in Loop: Header=BB4_77 Depth=1
	s_and_saveexec_b64 s[44:45], s[60:61]
	s_xor_b64 s[44:45], exec, s[44:45]
	s_cbranch_execz .LBB4_396
; %bb.359:                              ;   in Loop: Header=BB4_77 Depth=1
	s_and_saveexec_b64 s[30:31], s[16:17]
	s_cbranch_execz .LBB4_395
; %bb.360:                              ;   in Loop: Header=BB4_77 Depth=1
	s_mov_b64 s[36:37], exec
	v_mbcnt_lo_u32_b32 v2, s36, 0
	v_mbcnt_hi_u32_b32 v2, s37, v2
	v_cmp_eq_u32_e32 vcc, 0, v2
	s_waitcnt lgkmcnt(0)
	s_and_saveexec_b64 s[34:35], vcc
	s_cbranch_execz .LBB4_362
; %bb.361:                              ;   in Loop: Header=BB4_77 Depth=1
	s_bcnt1_i32_b64 vcc_lo, s[36:37]
	v_mov_b32_e32 v2, vcc_lo
	ds_add_u64 v0, v[2:3]
	s_trap 2
.LBB4_362:                              ;   in Loop: Header=BB4_77 Depth=1
	s_or_b64 exec, exec, s[34:35]
	s_trap 2
	ds_read_b64 v[10:11], v0
	s_waitcnt lgkmcnt(0)
	v_lshl_add_u64 v[26:27], v[26:27], 0, v[34:35]
	v_cmp_lt_u64_e32 vcc, v[10:11], v[26:27]
	s_and_saveexec_b64 s[34:35], vcc
	s_cbranch_execz .LBB4_394
; %bb.363:                              ;   in Loop: Header=BB4_77 Depth=1
	s_mov_b32 s54, 0
	s_mov_b64 s[36:37], 0
                                        ; implicit-def: $sgpr38_sgpr39
                                        ; implicit-def: $sgpr48_sgpr49
	s_branch .LBB4_365
.LBB4_364:                              ;   in Loop: Header=BB4_365 Depth=2
	s_or_b64 exec, exec, s[52:53]
	s_and_b64 vcc, exec, vcc
	s_or_b64 s[36:37], vcc, s[36:37]
	s_andn2_b64 vcc, s[38:39], exec
	s_and_b64 s[38:39], s[48:49], exec
	s_or_b64 s[38:39], vcc, s[38:39]
	s_andn2_b64 exec, exec, s[36:37]
	s_cbranch_execz .LBB4_392
.LBB4_365:                              ;   Parent Loop BB4_77 Depth=1
                                        ; =>  This Inner Loop Header: Depth=2
	s_add_i32 s54, s54, 1
	s_cmpk_lg_i32 s54, 0x2710
	s_cselect_b64 s[50:51], -1, 0
	s_and_b64 vcc, exec, s[50:51]
	s_cbranch_vccz .LBB4_367
; %bb.366:                              ;   in Loop: Header=BB4_365 Depth=2
	s_mov_b64 vcc, -1
	s_or_b64 s[48:49], s[48:49], exec
	s_and_saveexec_b64 s[52:53], s[50:51]
	s_cbranch_execz .LBB4_364
	s_branch .LBB4_368
.LBB4_367:                              ;   in Loop: Header=BB4_365 Depth=2
	s_trap 2
	ds_read_b64 v[10:11], v0
	s_andn2_b64 s[50:51], s[50:51], exec
	s_mov_b32 s54, 0
	s_waitcnt vmcnt(0) lgkmcnt(0)
	flat_load_dword v2, v[10:11] sc0 sc1
	s_waitcnt vmcnt(0) lgkmcnt(0)
	buffer_inv sc0 sc1
	v_cmp_eq_u32_e32 vcc, 0, v2
	s_and_b64 vcc, vcc, exec
	s_or_b64 s[50:51], s[50:51], vcc
	s_mov_b64 vcc, -1
	s_or_b64 s[48:49], s[48:49], exec
	s_and_saveexec_b64 s[52:53], s[50:51]
	s_cbranch_execz .LBB4_364
.LBB4_368:                              ;   in Loop: Header=BB4_365 Depth=2
	s_sleep 1
	s_trap 2
	ds_read_b64 v[10:11], v0
	s_waitcnt lgkmcnt(0)
	s_andn2_b64 s[48:49], s[48:49], exec
	v_cmp_ge_u64_e32 vcc, v[10:11], v[26:27]
	s_orn2_b64 vcc, vcc, exec
	s_branch .LBB4_364
.LBB4_369:                              ;   in Loop: Header=BB4_77 Depth=1
	s_or_b64 exec, exec, s[34:35]
	s_and_saveexec_b64 vcc, s[36:37]
	s_xor_b64 vcc, exec, vcc
	s_cbranch_execz .LBB4_371
; %bb.370:                              ;   in Loop: Header=BB4_77 Depth=1
	ds_write_b32 v0, v114
	s_trap 2
.LBB4_371:                              ;   in Loop: Header=BB4_77 Depth=1
	s_or_b64 exec, exec, s[30:31]
	;;#ASMSTART
	s_wakeup
	;;#ASMEND
.LBB4_372:                              ;   in Loop: Header=BB4_77 Depth=1
	s_or_b64 exec, exec, s[94:95]
.LBB4_373:                              ;   in Loop: Header=BB4_77 Depth=1
	s_andn2_saveexec_b64 s[44:45], s[44:45]
	s_cbranch_execz .LBB4_375
; %bb.374:                              ;   in Loop: Header=BB4_77 Depth=1
	s_waitcnt lgkmcnt(0)
	s_barrier
.LBB4_375:                              ;   in Loop: Header=BB4_77 Depth=1
	s_or_b64 exec, exec, s[44:45]
.LBB4_376:                              ;   in Loop: Header=BB4_77 Depth=1
	s_or_b64 exec, exec, s[42:43]
	v_and_b32_e32 v10, 16, v112
	s_and_saveexec_b64 s[42:43], s[24:25]
	s_xor_b64 s[42:43], exec, s[42:43]
	s_cbranch_execz .LBB4_380
; %bb.377:                              ;   in Loop: Header=BB4_77 Depth=1
	v_and_b32_e32 v2, 16, v112
	v_cmp_ne_u32_e32 vcc, 0, v2
	v_and_b32_e32 v10, 16, v112
	s_and_b64 s[44:45], vcc, s[40:41]
	s_and_saveexec_b64 s[40:41], s[44:45]
	s_cbranch_execz .LBB4_379
; %bb.378:                              ;   in Loop: Header=BB4_77 Depth=1
	v_mov_b32_e32 v10, 1
	buffer_wbl2 sc1
	s_waitcnt vmcnt(0) lgkmcnt(0)
	buffer_inv sc1
.LBB4_379:                              ;   in Loop: Header=BB4_77 Depth=1
	s_or_b64 exec, exec, s[40:41]
.LBB4_380:                              ;   in Loop: Header=BB4_77 Depth=1
	s_andn2_saveexec_b64 s[40:41], s[42:43]
	s_cbranch_execz .LBB4_423
; %bb.381:                              ;   in Loop: Header=BB4_77 Depth=1
	s_and_saveexec_b64 s[42:43], s[60:61]
	s_xor_b64 s[42:43], exec, s[42:43]
	s_cbranch_execz .LBB4_420
; %bb.382:                              ;   in Loop: Header=BB4_77 Depth=1
	s_and_saveexec_b64 s[44:45], s[16:17]
	s_cbranch_execz .LBB4_419
; %bb.383:                              ;   in Loop: Header=BB4_77 Depth=1
	s_mov_b64 s[30:31], exec
	v_mbcnt_lo_u32_b32 v2, s30, 0
	v_mbcnt_hi_u32_b32 v2, s31, v2
	v_cmp_eq_u32_e32 vcc, 0, v2
	;;#ASMSTART
	s_waitcnt lgkmcnt(0) vmcnt(0)
	;;#ASMEND
	s_and_saveexec_b64 s[94:95], vcc
	s_cbranch_execz .LBB4_385
; %bb.384:                              ;   in Loop: Header=BB4_77 Depth=1
	s_bcnt1_i32_b64 vcc_lo, s[30:31]
	v_mov_b32_e32 v2, vcc_lo
	s_waitcnt lgkmcnt(0)
	ds_add_u64 v0, v[2:3]
	s_trap 2
.LBB4_385:                              ;   in Loop: Header=BB4_77 Depth=1
	s_or_b64 exec, exec, s[94:95]
	s_trap 2
	ds_read_b64 v[12:13], v0
	s_waitcnt lgkmcnt(0)
	v_lshl_add_u64 v[26:27], v[26:27], 0, v[34:35]
	v_cmp_lt_u64_e32 vcc, v[12:13], v[26:27]
	s_and_saveexec_b64 s[94:95], vcc
	s_cbranch_execz .LBB4_418
; %bb.386:                              ;   in Loop: Header=BB4_77 Depth=1
	s_mov_b32 s50, 0
	s_mov_b64 s[30:31], 0
                                        ; implicit-def: $sgpr34_sgpr35
                                        ; implicit-def: $sgpr36_sgpr37
	s_branch .LBB4_388
.LBB4_387:                              ;   in Loop: Header=BB4_388 Depth=2
	s_or_b64 exec, exec, s[48:49]
	s_and_b64 vcc, exec, vcc
	s_or_b64 s[30:31], vcc, s[30:31]
	s_andn2_b64 vcc, s[34:35], exec
	s_and_b64 s[34:35], s[36:37], exec
	s_or_b64 s[34:35], vcc, s[34:35]
	s_andn2_b64 exec, exec, s[30:31]
	s_cbranch_execz .LBB4_416
.LBB4_388:                              ;   Parent Loop BB4_77 Depth=1
                                        ; =>  This Inner Loop Header: Depth=2
	s_add_i32 s50, s50, 1
	s_cmpk_lg_i32 s50, 0x2710
	s_cselect_b64 s[38:39], -1, 0
	s_and_b64 vcc, exec, s[38:39]
	s_cbranch_vccz .LBB4_390
; %bb.389:                              ;   in Loop: Header=BB4_388 Depth=2
	s_mov_b64 vcc, -1
	s_or_b64 s[36:37], s[36:37], exec
	s_and_saveexec_b64 s[48:49], s[38:39]
	s_cbranch_execz .LBB4_387
	s_branch .LBB4_391
.LBB4_390:                              ;   in Loop: Header=BB4_388 Depth=2
	s_trap 2
	ds_read_b64 v[12:13], v0
	s_andn2_b64 s[38:39], s[38:39], exec
	s_mov_b32 s50, 0
	s_waitcnt vmcnt(0) lgkmcnt(0)
	flat_load_dword v2, v[12:13] sc0 sc1
	s_waitcnt vmcnt(0) lgkmcnt(0)
	buffer_inv sc0 sc1
	v_cmp_eq_u32_e32 vcc, 0, v2
	s_and_b64 vcc, vcc, exec
	s_or_b64 s[38:39], s[38:39], vcc
	s_mov_b64 vcc, -1
	s_or_b64 s[36:37], s[36:37], exec
	s_and_saveexec_b64 s[48:49], s[38:39]
	s_cbranch_execz .LBB4_387
.LBB4_391:                              ;   in Loop: Header=BB4_388 Depth=2
	s_sleep 1
	s_trap 2
	ds_read_b64 v[12:13], v0
	s_waitcnt lgkmcnt(0)
	s_andn2_b64 s[36:37], s[36:37], exec
	v_cmp_ge_u64_e32 vcc, v[12:13], v[26:27]
	s_orn2_b64 vcc, vcc, exec
	s_branch .LBB4_387
.LBB4_392:                              ;   in Loop: Header=BB4_77 Depth=1
	s_or_b64 exec, exec, s[36:37]
	s_and_saveexec_b64 vcc, s[38:39]
	s_xor_b64 vcc, exec, vcc
	s_cbranch_execz .LBB4_394
; %bb.393:                              ;   in Loop: Header=BB4_77 Depth=1
	ds_write_b32 v0, v114
	s_trap 2
.LBB4_394:                              ;   in Loop: Header=BB4_77 Depth=1
	s_or_b64 exec, exec, s[34:35]
	;;#ASMSTART
	s_wakeup
	;;#ASMEND
.LBB4_395:                              ;   in Loop: Header=BB4_77 Depth=1
	s_or_b64 exec, exec, s[30:31]
.LBB4_396:                              ;   in Loop: Header=BB4_77 Depth=1
	s_andn2_saveexec_b64 s[44:45], s[44:45]
	s_cbranch_execz .LBB4_398
; %bb.397:                              ;   in Loop: Header=BB4_77 Depth=1
	s_waitcnt lgkmcnt(0)
	s_barrier
.LBB4_398:                              ;   in Loop: Header=BB4_77 Depth=1
	s_or_b64 exec, exec, s[44:45]
.LBB4_399:                              ;   in Loop: Header=BB4_77 Depth=1
	s_or_b64 exec, exec, s[42:43]
	v_and_b32_e32 v10, 16, v112
	s_and_saveexec_b64 s[42:43], s[24:25]
	s_xor_b64 s[42:43], exec, s[42:43]
	s_cbranch_execz .LBB4_404
; %bb.400:                              ;   in Loop: Header=BB4_77 Depth=1
	v_and_b32_e32 v2, 16, v112
	v_cmp_ne_u32_e32 vcc, 0, v2
	v_and_b32_e32 v10, 16, v112
	s_and_b64 s[44:45], vcc, s[40:41]
	s_and_saveexec_b64 s[40:41], s[44:45]
	s_cbranch_execz .LBB4_402
; %bb.401:                              ;   in Loop: Header=BB4_77 Depth=1
	v_mov_b32_e32 v10, 1
	buffer_wbl2 sc1
	s_waitcnt vmcnt(0) lgkmcnt(0)
	buffer_inv sc1
.LBB4_402:                              ;   in Loop: Header=BB4_77 Depth=1
	s_or_b64 exec, exec, s[40:41]
	s_andn2_saveexec_b64 s[40:41], s[42:43]
	s_cbranch_execnz .LBB4_405
.LBB4_403:                              ;   in Loop: Header=BB4_77 Depth=1
	s_or_b64 exec, exec, s[40:41]
	v_cmp_ne_u32_e32 vcc, 0, v10
	s_and_saveexec_b64 s[40:41], vcc
	s_cbranch_execnz .LBB4_474
	s_branch .LBB4_477
.LBB4_404:                              ;   in Loop: Header=BB4_77 Depth=1
	s_andn2_saveexec_b64 s[40:41], s[42:43]
	s_cbranch_execz .LBB4_403
.LBB4_405:                              ;   in Loop: Header=BB4_77 Depth=1
	s_and_saveexec_b64 s[42:43], s[60:61]
	s_xor_b64 s[42:43], exec, s[42:43]
	s_cbranch_execz .LBB4_471
; %bb.406:                              ;   in Loop: Header=BB4_77 Depth=1
	s_and_saveexec_b64 s[44:45], s[16:17]
	s_cbranch_execz .LBB4_470
; %bb.407:                              ;   in Loop: Header=BB4_77 Depth=1
	s_mov_b64 s[34:35], exec
	v_mbcnt_lo_u32_b32 v2, s34, 0
	v_mbcnt_hi_u32_b32 v2, s35, v2
	v_cmp_eq_u32_e32 vcc, 0, v2
	;;#ASMSTART
	s_waitcnt lgkmcnt(0) vmcnt(0)
	;;#ASMEND
	s_and_saveexec_b64 s[30:31], vcc
	s_cbranch_execz .LBB4_409
; %bb.408:                              ;   in Loop: Header=BB4_77 Depth=1
	s_bcnt1_i32_b64 vcc_lo, s[34:35]
	v_mov_b32_e32 v2, vcc_lo
	s_waitcnt lgkmcnt(0)
	ds_add_u64 v0, v[2:3]
	s_trap 2
.LBB4_409:                              ;   in Loop: Header=BB4_77 Depth=1
	s_or_b64 exec, exec, s[30:31]
	s_trap 2
	ds_read_b64 v[12:13], v0
	s_waitcnt lgkmcnt(0)
	v_lshl_add_u64 v[26:27], v[26:27], 0, v[34:35]
	v_cmp_lt_u64_e32 vcc, v[12:13], v[26:27]
	s_and_saveexec_b64 s[30:31], vcc
	s_cbranch_execz .LBB4_469
; %bb.410:                              ;   in Loop: Header=BB4_77 Depth=1
	s_mov_b32 s52, 0
	s_mov_b64 s[34:35], 0
                                        ; implicit-def: $sgpr36_sgpr37
                                        ; implicit-def: $sgpr38_sgpr39
	s_branch .LBB4_412
.LBB4_411:                              ;   in Loop: Header=BB4_412 Depth=2
	s_or_b64 exec, exec, s[50:51]
	s_and_b64 vcc, exec, vcc
	s_or_b64 s[34:35], vcc, s[34:35]
	s_andn2_b64 vcc, s[36:37], exec
	s_and_b64 s[36:37], s[38:39], exec
	s_or_b64 s[36:37], vcc, s[36:37]
	s_andn2_b64 exec, exec, s[34:35]
	s_cbranch_execz .LBB4_467
.LBB4_412:                              ;   Parent Loop BB4_77 Depth=1
                                        ; =>  This Inner Loop Header: Depth=2
	s_add_i32 s52, s52, 1
	s_cmpk_lg_i32 s52, 0x2710
	s_cselect_b64 s[48:49], -1, 0
	s_and_b64 vcc, exec, s[48:49]
	s_cbranch_vccz .LBB4_414
; %bb.413:                              ;   in Loop: Header=BB4_412 Depth=2
	s_mov_b64 vcc, -1
	s_or_b64 s[38:39], s[38:39], exec
	s_and_saveexec_b64 s[50:51], s[48:49]
	s_cbranch_execz .LBB4_411
	s_branch .LBB4_415
.LBB4_414:                              ;   in Loop: Header=BB4_412 Depth=2
	s_trap 2
	ds_read_b64 v[12:13], v0
	s_andn2_b64 s[48:49], s[48:49], exec
	s_mov_b32 s52, 0
	s_waitcnt vmcnt(0) lgkmcnt(0)
	flat_load_dword v2, v[12:13] sc0 sc1
	s_waitcnt vmcnt(0) lgkmcnt(0)
	buffer_inv sc0 sc1
	v_cmp_eq_u32_e32 vcc, 0, v2
	s_and_b64 vcc, vcc, exec
	s_or_b64 s[48:49], s[48:49], vcc
	s_mov_b64 vcc, -1
	s_or_b64 s[38:39], s[38:39], exec
	s_and_saveexec_b64 s[50:51], s[48:49]
	s_cbranch_execz .LBB4_411
.LBB4_415:                              ;   in Loop: Header=BB4_412 Depth=2
	s_sleep 1
	s_trap 2
	ds_read_b64 v[12:13], v0
	s_waitcnt lgkmcnt(0)
	s_andn2_b64 s[38:39], s[38:39], exec
	v_cmp_ge_u64_e32 vcc, v[12:13], v[26:27]
	s_orn2_b64 vcc, vcc, exec
	s_branch .LBB4_411
.LBB4_416:                              ;   in Loop: Header=BB4_77 Depth=1
	s_or_b64 exec, exec, s[30:31]
	s_and_saveexec_b64 vcc, s[34:35]
	s_xor_b64 vcc, exec, vcc
	s_cbranch_execz .LBB4_418
; %bb.417:                              ;   in Loop: Header=BB4_77 Depth=1
	ds_write_b32 v0, v114
	s_trap 2
.LBB4_418:                              ;   in Loop: Header=BB4_77 Depth=1
	s_or_b64 exec, exec, s[94:95]
	;;#ASMSTART
	s_wakeup
	;;#ASMEND
.LBB4_419:                              ;   in Loop: Header=BB4_77 Depth=1
	s_or_b64 exec, exec, s[44:45]
.LBB4_420:                              ;   in Loop: Header=BB4_77 Depth=1
	s_andn2_saveexec_b64 s[42:43], s[42:43]
	s_cbranch_execz .LBB4_422
; %bb.421:                              ;   in Loop: Header=BB4_77 Depth=1
	;;#ASMSTART
	s_waitcnt lgkmcnt(0) vmcnt(0)
	;;#ASMEND
	s_barrier
.LBB4_422:                              ;   in Loop: Header=BB4_77 Depth=1
	s_or_b64 exec, exec, s[42:43]
.LBB4_423:                              ;   in Loop: Header=BB4_77 Depth=1
	s_or_b64 exec, exec, s[40:41]
	v_cmp_ne_u32_e32 vcc, 0, v10
	s_xor_b64 s[40:41], s[12:13], -1
	s_and_b64 s[42:43], vcc, s[40:41]
	s_and_saveexec_b64 s[40:41], s[42:43]
	s_cbranch_execz .LBB4_425
; %bb.424:                              ;   in Loop: Header=BB4_77 Depth=1
	flat_store_dword v[28:29], v114 sc0 sc1
.LBB4_425:                              ;   in Loop: Header=BB4_77 Depth=1
	s_or_b64 exec, exec, s[40:41]
	v_and_b32_e32 v2, 48, v112
	v_cmp_ne_u32_e32 vcc, 0, v2
	s_and_saveexec_b64 s[40:41], vcc
	s_cbranch_execz .LBB4_427
; %bb.426:                              ;   in Loop: Header=BB4_77 Depth=1
	v_lshl_add_u64 v[8:9], v[8:9], 0, 1
	flat_store_dwordx2 v[20:21], v[8:9] sc0 sc1
.LBB4_427:                              ;   in Loop: Header=BB4_77 Depth=1
	s_or_b64 exec, exec, s[40:41]
	v_mov_b32_e32 v2, v82
.LBB4_428:                              ;   in Loop: Header=BB4_77 Depth=1
	s_or_b64 exec, exec, s[92:93]
	s_mov_b64 s[40:41], 0
	s_and_saveexec_b64 s[42:43], s[26:27]
	s_cbranch_execz .LBB4_569
; %bb.429:                              ;   in Loop: Header=BB4_77 Depth=1
	v_sub_u32_e32 v2, v41, v2
	v_min_i32_e32 v10, v82, v2
	v_and_b32_e32 v2, 12, v112
	v_cmp_ne_u32_e32 vcc, 0, v2
	s_and_saveexec_b64 s[44:45], vcc
	s_cbranch_execz .LBB4_455
; %bb.430:                              ;   in Loop: Header=BB4_77 Depth=1
	v_and_b32_e32 v2, 8, v112
	s_waitcnt vmcnt(0) lgkmcnt(0)
	v_lshl_add_u64 v[82:83], v[32:33], 0, v[2:3]
	v_lshl_add_u64 v[12:13], v[8:9], 0, 1
	v_cmp_lt_u64_e32 vcc, v[82:83], v[12:13]
	s_and_saveexec_b64 s[92:93], vcc
	s_cbranch_execz .LBB4_442
; %bb.431:                              ;   in Loop: Header=BB4_77 Depth=1
	v_and_b32_e32 v9, 64, v112
	s_mov_b32 s64, 0
	v_cmp_eq_u32_e32 vcc, 0, v9
	s_mov_b64 s[94:95], 0
                                        ; implicit-def: $sgpr30_sgpr31
                                        ; implicit-def: $sgpr34_sgpr35
                                        ; implicit-def: $sgpr36_sgpr37
	s_branch .LBB4_435
.LBB4_432:                              ;   in Loop: Header=BB4_435 Depth=2
	s_waitcnt vmcnt(0) lgkmcnt(0)
	v_lshl_add_u64 v[82:83], v[32:33], 0, v[2:3]
	v_cmp_ge_u64_e64 s[40:41], v[82:83], v[12:13]
	s_or_b64 s[50:51], s[50:51], exec
	s_orn2_b64 s[48:49], s[40:41], exec
.LBB4_433:                              ;   in Loop: Header=BB4_435 Depth=2
	s_or_b64 exec, exec, s[54:55]
	s_andn2_b64 s[40:41], s[36:37], exec
	s_and_b64 s[36:37], s[50:51], exec
	s_or_b64 s[36:37], s[40:41], s[36:37]
	s_andn2_b64 s[40:41], s[34:35], exec
	s_and_b64 s[34:35], s[48:49], exec
	s_or_b64 s[34:35], s[40:41], s[34:35]
.LBB4_434:                              ;   in Loop: Header=BB4_435 Depth=2
	s_or_b64 exec, exec, s[38:39]
	s_and_b64 s[40:41], exec, s[34:35]
	s_or_b64 s[94:95], s[40:41], s[94:95]
	s_andn2_b64 s[40:41], s[30:31], exec
	s_and_b64 s[30:31], s[36:37], exec
	s_or_b64 s[30:31], s[40:41], s[30:31]
	s_andn2_b64 exec, exec, s[94:95]
	s_cbranch_execz .LBB4_439
.LBB4_435:                              ;   Parent Loop BB4_77 Depth=1
                                        ; =>  This Inner Loop Header: Depth=2
	s_sleep 1
	s_waitcnt vmcnt(0) lgkmcnt(0)
	flat_load_dwordx2 v[32:33], v[20:21] sc0 sc1
	s_or_b64 s[36:37], s[36:37], exec
	s_or_b64 s[34:35], s[34:35], exec
                                        ; implicit-def: $vgpr9
	s_and_saveexec_b64 s[38:39], vcc
	s_cbranch_execz .LBB4_434
; %bb.436:                              ;   in Loop: Header=BB4_435 Depth=2
	s_cmpk_lt_i32 s64, 0x270f
	s_cselect_b64 s[52:53], -1, 0
	s_cmpk_gt_i32 s64, 0x270e
	s_mov_b64 s[48:49], -1
	s_cbranch_scc0 .LBB4_438
; %bb.437:                              ;   in Loop: Header=BB4_435 Depth=2
	s_trap 2
	ds_read_b64 v[82:83], v0
	s_andn2_b64 s[52:53], s[52:53], exec
	s_mov_b32 s64, 0
	s_mov_b64 s[50:51], 0
	s_waitcnt vmcnt(0) lgkmcnt(0)
	flat_load_dword v9, v[82:83] sc0 sc1
	s_waitcnt vmcnt(0) lgkmcnt(0)
	buffer_inv sc0 sc1
	v_cmp_eq_u32_e64 s[40:41], 0, v9
	s_and_b64 s[40:41], s[40:41], exec
	s_or_b64 s[52:53], s[52:53], s[40:41]
	s_and_saveexec_b64 s[54:55], s[52:53]
	s_cbranch_execz .LBB4_433
	s_branch .LBB4_432
.LBB4_438:                              ;   in Loop: Header=BB4_435 Depth=2
	s_add_i32 s64, s64, 1
	s_mov_b64 s[50:51], -1
                                        ; implicit-def: $vgpr9
	s_and_saveexec_b64 s[54:55], s[52:53]
	s_cbranch_execz .LBB4_433
	s_branch .LBB4_432
.LBB4_439:                              ;   in Loop: Header=BB4_77 Depth=1
	s_or_b64 exec, exec, s[94:95]
	s_xor_b64 s[40:41], s[30:31], -1
	s_and_saveexec_b64 s[94:95], s[40:41]
	s_xor_b64 s[40:41], exec, s[94:95]
	s_cbranch_execz .LBB4_441
; %bb.440:                              ;   in Loop: Header=BB4_77 Depth=1
	v_or_b32_e32 v112, 64, v112
	s_waitcnt lgkmcnt(0)
	ds_write_b32 v0, v9
	s_trap 2
.LBB4_441:                              ;   in Loop: Header=BB4_77 Depth=1
	s_or_b64 exec, exec, s[40:41]
.LBB4_442:                              ;   in Loop: Header=BB4_77 Depth=1
	s_or_b64 exec, exec, s[92:93]
	v_and_b32_e32 v9, 0x108, v112
	v_cmp_ne_u32_e32 vcc, s69, v9
	;;#ASMSTART
	s_wakeup
	;;#ASMEND
                                        ; implicit-def: $vgpr82_vgpr83
	s_and_saveexec_b64 s[40:41], vcc
	s_xor_b64 s[40:41], exec, s[40:41]
; %bb.443:                              ;   in Loop: Header=BB4_77 Depth=1
	v_and_b32_e32 v82, 7, v8
	v_mov_b32_e32 v83, v3
; %bb.444:                              ;   in Loop: Header=BB4_77 Depth=1
	s_andn2_saveexec_b64 s[40:41], s[40:41]
	s_cbranch_execz .LBB4_446
; %bb.445:                              ;   in Loop: Header=BB4_77 Depth=1
	v_and_b32_e32 v82, 7, v8
	v_mov_b32_e32 v83, v3
	v_mad_u64_u32 v[8:9], s[92:93], v82, 24, v[6:7]
	v_ashrrev_i32_e32 v11, 31, v10
	flat_store_dwordx2 v[8:9], v[10:11] offset:8
.LBB4_446:                              ;   in Loop: Header=BB4_77 Depth=1
	s_or_b64 exec, exec, s[40:41]
	v_and_b32_e32 v8, 0x100, v112
	v_cmp_ne_u32_e32 vcc, 0, v8
	s_mov_b64 s[40:41], -1
                                        ; implicit-def: $vgpr8_vgpr9
	s_and_saveexec_b64 s[92:93], vcc
	s_cbranch_execz .LBB4_450
; %bb.447:                              ;   in Loop: Header=BB4_77 Depth=1
	v_mad_u64_u32 v[84:85], s[40:41], v82, 24, v[6:7]
	v_mov_b32_e32 v8, v85
	v_mad_u64_u32 v[8:9], s[40:41], v83, 24, v[8:9]
	v_mov_b32_e32 v85, v8
	flat_load_dword v8, v[84:85]
	s_waitcnt vmcnt(0) lgkmcnt(0)
	v_cmp_ne_u32_e32 vcc, 1, v8
	v_cmp_eq_u32_e64 s[40:41], 1, v8
                                        ; implicit-def: $vgpr8_vgpr9
	s_and_saveexec_b64 s[94:95], s[40:41]
	s_cbranch_execz .LBB4_449
; %bb.448:                              ;   in Loop: Header=BB4_77 Depth=1
	flat_load_dword v8, v[84:85] offset:4 sc0 sc1
	s_waitcnt vmcnt(0) lgkmcnt(0)
	v_ashrrev_i32_e32 v9, 31, v8
.LBB4_449:                              ;   in Loop: Header=BB4_77 Depth=1
	s_or_b64 exec, exec, s[94:95]
	s_orn2_b64 s[40:41], vcc, exec
.LBB4_450:                              ;   in Loop: Header=BB4_77 Depth=1
	s_or_b64 exec, exec, s[92:93]
	s_and_saveexec_b64 s[92:93], s[40:41]
; %bb.451:                              ;   in Loop: Header=BB4_77 Depth=1
	v_mul_lo_u32 v11, v83, v22
	v_mul_lo_u32 v83, v82, v1
	v_mad_u64_u32 v[8:9], s[40:41], v82, v22, 0
	v_add3_u32 v9, v9, v83, v11
; %bb.452:                              ;   in Loop: Header=BB4_77 Depth=1
	s_or_b64 exec, exec, s[92:93]
	v_cmp_eq_u32_e32 vcc, 0, v2
	v_lshl_add_u64 v[8:9], v[24:25], 0, v[8:9]
	s_nop 0
	v_cndmask_b32_e32 v2, v115, v116, vcc
	v_add_u32_e32 v2, v0, v2
	ds_write_b64 v2, v[8:9] offset:584
	v_and_b32_e32 v2, 0x2000, v112
	v_cmp_ne_u32_e32 vcc, 0, v2
	s_and_saveexec_b64 s[40:41], vcc
	s_cbranch_execz .LBB4_454
; %bb.453:                              ;   in Loop: Header=BB4_77 Depth=1
	ds_read_b64 v[8:9], v0 offset:872
	s_waitcnt lgkmcnt(0)
	v_lshl_add_u64 v[8:9], v[8:9], 0, 1
	ds_write_b64 v0, v[8:9] offset:872
.LBB4_454:                              ;   in Loop: Header=BB4_77 Depth=1
	s_or_b64 exec, exec, s[40:41]
	v_mov_b64_e32 v[8:9], v[12:13]
.LBB4_455:                              ;   in Loop: Header=BB4_77 Depth=1
	s_or_b64 exec, exec, s[44:45]
	s_and_saveexec_b64 s[40:41], s[10:11]
	s_cbranch_execz .LBB4_520
; %bb.456:                              ;   in Loop: Header=BB4_77 Depth=1
	s_and_saveexec_b64 s[44:45], s[60:61]
	s_xor_b64 s[44:45], exec, s[44:45]
	s_cbranch_execz .LBB4_517
; %bb.457:                              ;   in Loop: Header=BB4_77 Depth=1
	s_and_saveexec_b64 s[92:93], s[16:17]
	s_cbranch_execz .LBB4_516
; %bb.458:                              ;   in Loop: Header=BB4_77 Depth=1
	s_mov_b64 s[30:31], exec
	v_mbcnt_lo_u32_b32 v2, s30, 0
	v_mbcnt_hi_u32_b32 v2, s31, v2
	v_cmp_eq_u32_e32 vcc, 0, v2
	s_waitcnt lgkmcnt(0)
	s_and_saveexec_b64 s[94:95], vcc
	s_cbranch_execz .LBB4_460
; %bb.459:                              ;   in Loop: Header=BB4_77 Depth=1
	s_bcnt1_i32_b64 vcc_lo, s[30:31]
	v_mov_b32_e32 v2, vcc_lo
	ds_add_u64 v0, v[2:3]
	s_trap 2
.LBB4_460:                              ;   in Loop: Header=BB4_77 Depth=1
	s_or_b64 exec, exec, s[94:95]
	s_trap 2
	ds_read_b64 v[12:13], v0
	s_waitcnt lgkmcnt(0)
	v_lshl_add_u64 v[26:27], v[26:27], 0, v[34:35]
	v_cmp_lt_u64_e32 vcc, v[12:13], v[26:27]
	s_and_saveexec_b64 s[94:95], vcc
	s_cbranch_execz .LBB4_515
; %bb.461:                              ;   in Loop: Header=BB4_77 Depth=1
	s_mov_b32 s50, 0
	s_mov_b64 s[30:31], 0
                                        ; implicit-def: $sgpr34_sgpr35
                                        ; implicit-def: $sgpr36_sgpr37
	s_branch .LBB4_463
.LBB4_462:                              ;   in Loop: Header=BB4_463 Depth=2
	s_or_b64 exec, exec, s[48:49]
	s_and_b64 vcc, exec, vcc
	s_or_b64 s[30:31], vcc, s[30:31]
	s_andn2_b64 vcc, s[34:35], exec
	s_and_b64 s[34:35], s[36:37], exec
	s_or_b64 s[34:35], vcc, s[34:35]
	s_andn2_b64 exec, exec, s[30:31]
	s_cbranch_execz .LBB4_513
.LBB4_463:                              ;   Parent Loop BB4_77 Depth=1
                                        ; =>  This Inner Loop Header: Depth=2
	s_add_i32 s50, s50, 1
	s_cmpk_lg_i32 s50, 0x2710
	s_cselect_b64 s[38:39], -1, 0
	s_and_b64 vcc, exec, s[38:39]
	s_cbranch_vccz .LBB4_465
; %bb.464:                              ;   in Loop: Header=BB4_463 Depth=2
	s_mov_b64 vcc, -1
	s_or_b64 s[36:37], s[36:37], exec
	s_and_saveexec_b64 s[48:49], s[38:39]
	s_cbranch_execz .LBB4_462
	s_branch .LBB4_466
.LBB4_465:                              ;   in Loop: Header=BB4_463 Depth=2
	s_trap 2
	ds_read_b64 v[12:13], v0
	s_andn2_b64 s[38:39], s[38:39], exec
	s_mov_b32 s50, 0
	s_waitcnt vmcnt(0) lgkmcnt(0)
	flat_load_dword v2, v[12:13] sc0 sc1
	s_waitcnt vmcnt(0) lgkmcnt(0)
	buffer_inv sc0 sc1
	v_cmp_eq_u32_e32 vcc, 0, v2
	s_and_b64 vcc, vcc, exec
	s_or_b64 s[38:39], s[38:39], vcc
	s_mov_b64 vcc, -1
	s_or_b64 s[36:37], s[36:37], exec
	s_and_saveexec_b64 s[48:49], s[38:39]
	s_cbranch_execz .LBB4_462
.LBB4_466:                              ;   in Loop: Header=BB4_463 Depth=2
	s_sleep 1
	s_trap 2
	ds_read_b64 v[12:13], v0
	s_waitcnt lgkmcnt(0)
	s_andn2_b64 s[36:37], s[36:37], exec
	v_cmp_ge_u64_e32 vcc, v[12:13], v[26:27]
	s_orn2_b64 vcc, vcc, exec
	s_branch .LBB4_462
.LBB4_467:                              ;   in Loop: Header=BB4_77 Depth=1
	s_or_b64 exec, exec, s[34:35]
	s_and_saveexec_b64 vcc, s[36:37]
	s_xor_b64 vcc, exec, vcc
	s_cbranch_execz .LBB4_469
; %bb.468:                              ;   in Loop: Header=BB4_77 Depth=1
	ds_write_b32 v0, v114
	s_trap 2
.LBB4_469:                              ;   in Loop: Header=BB4_77 Depth=1
	s_or_b64 exec, exec, s[30:31]
	;;#ASMSTART
	s_wakeup
	;;#ASMEND
.LBB4_470:                              ;   in Loop: Header=BB4_77 Depth=1
	s_or_b64 exec, exec, s[44:45]
.LBB4_471:                              ;   in Loop: Header=BB4_77 Depth=1
	s_andn2_saveexec_b64 s[42:43], s[42:43]
	s_cbranch_execz .LBB4_473
; %bb.472:                              ;   in Loop: Header=BB4_77 Depth=1
	;;#ASMSTART
	s_waitcnt lgkmcnt(0) vmcnt(0)
	;;#ASMEND
	s_barrier
.LBB4_473:                              ;   in Loop: Header=BB4_77 Depth=1
	s_or_b64 exec, exec, s[42:43]
	s_or_b64 exec, exec, s[40:41]
	v_cmp_ne_u32_e32 vcc, 0, v10
	s_and_saveexec_b64 s[40:41], vcc
	s_cbranch_execz .LBB4_477
.LBB4_474:                              ;   in Loop: Header=BB4_77 Depth=1
	s_and_saveexec_b64 s[42:43], s[14:15]
	s_cbranch_execz .LBB4_476
; %bb.475:                              ;   in Loop: Header=BB4_77 Depth=1
	flat_store_dword v[28:29], v114 sc0 sc1
.LBB4_476:                              ;   in Loop: Header=BB4_77 Depth=1
	s_or_b64 exec, exec, s[42:43]
	v_lshl_add_u64 v[8:9], v[8:9], 0, 1
	flat_store_dwordx2 v[20:21], v[8:9] sc0 sc1
.LBB4_477:                              ;   in Loop: Header=BB4_77 Depth=1
	s_or_b64 exec, exec, s[40:41]
	v_mov_b32_e32 v2, v82
.LBB4_478:                              ;   in Loop: Header=BB4_77 Depth=1
	s_or_b64 exec, exec, s[94:95]
	s_mov_b64 s[44:45], 0
	s_mov_b64 s[40:41], s[88:89]
	s_and_saveexec_b64 s[42:43], s[26:27]
	s_cbranch_execz .LBB4_618
; %bb.479:                              ;   in Loop: Header=BB4_77 Depth=1
	v_sub_u32_e32 v2, v41, v2
	v_min_i32_e32 v10, v82, v2
	v_and_b32_e32 v2, 8, v112
	v_cmp_ne_u32_e32 vcc, 0, v2
	s_and_saveexec_b64 s[44:45], vcc
	s_cbranch_execz .LBB4_501
; %bb.480:                              ;   in Loop: Header=BB4_77 Depth=1
	s_waitcnt vmcnt(0) lgkmcnt(0)
	v_lshl_add_u64 v[82:83], v[32:33], 0, 8
	v_lshl_add_u64 v[12:13], v[8:9], 0, 1
	v_cmp_lt_u64_e32 vcc, v[82:83], v[12:13]
	s_and_saveexec_b64 s[94:95], vcc
	s_cbranch_execz .LBB4_492
; %bb.481:                              ;   in Loop: Header=BB4_77 Depth=1
	v_and_b32_e32 v2, 64, v112
	s_mov_b32 s66, 0
	v_cmp_eq_u32_e32 vcc, 0, v2
	s_mov_b64 s[30:31], 0
                                        ; implicit-def: $sgpr34_sgpr35
                                        ; implicit-def: $sgpr36_sgpr37
                                        ; implicit-def: $sgpr38_sgpr39
	s_branch .LBB4_485
.LBB4_482:                              ;   in Loop: Header=BB4_485 Depth=2
	s_waitcnt vmcnt(0) lgkmcnt(0)
	v_lshl_add_u64 v[82:83], v[32:33], 0, 8
	v_cmp_ge_u64_e64 s[40:41], v[82:83], v[12:13]
	s_or_b64 s[52:53], s[52:53], exec
	s_orn2_b64 s[50:51], s[40:41], exec
.LBB4_483:                              ;   in Loop: Header=BB4_485 Depth=2
	s_or_b64 exec, exec, s[64:65]
	s_andn2_b64 s[40:41], s[38:39], exec
	s_and_b64 s[38:39], s[52:53], exec
	s_or_b64 s[38:39], s[40:41], s[38:39]
	s_andn2_b64 s[40:41], s[36:37], exec
	s_and_b64 s[36:37], s[50:51], exec
	s_or_b64 s[36:37], s[40:41], s[36:37]
.LBB4_484:                              ;   in Loop: Header=BB4_485 Depth=2
	s_or_b64 exec, exec, s[48:49]
	s_and_b64 s[40:41], exec, s[36:37]
	s_or_b64 s[30:31], s[40:41], s[30:31]
	s_andn2_b64 s[40:41], s[34:35], exec
	s_and_b64 s[34:35], s[38:39], exec
	s_or_b64 s[34:35], s[40:41], s[34:35]
	s_andn2_b64 exec, exec, s[30:31]
	s_cbranch_execz .LBB4_489
.LBB4_485:                              ;   Parent Loop BB4_77 Depth=1
                                        ; =>  This Inner Loop Header: Depth=2
	s_sleep 1
	s_waitcnt vmcnt(0) lgkmcnt(0)
	flat_load_dwordx2 v[32:33], v[20:21] sc0 sc1
	s_or_b64 s[38:39], s[38:39], exec
	s_or_b64 s[36:37], s[36:37], exec
                                        ; implicit-def: $vgpr2
	s_and_saveexec_b64 s[48:49], vcc
	s_cbranch_execz .LBB4_484
; %bb.486:                              ;   in Loop: Header=BB4_485 Depth=2
	s_cmpk_lt_i32 s66, 0x270f
	s_cselect_b64 s[54:55], -1, 0
	s_cmpk_gt_i32 s66, 0x270e
	s_mov_b64 s[50:51], -1
	s_cbranch_scc0 .LBB4_488
; %bb.487:                              ;   in Loop: Header=BB4_485 Depth=2
	s_trap 2
	ds_read_b64 v[82:83], v0
	s_andn2_b64 s[54:55], s[54:55], exec
	s_mov_b32 s66, 0
	s_mov_b64 s[52:53], 0
	s_waitcnt vmcnt(0) lgkmcnt(0)
	flat_load_dword v2, v[82:83] sc0 sc1
	s_waitcnt vmcnt(0) lgkmcnt(0)
	buffer_inv sc0 sc1
	v_cmp_eq_u32_e64 s[40:41], 0, v2
	s_and_b64 s[40:41], s[40:41], exec
	s_or_b64 s[54:55], s[54:55], s[40:41]
	s_and_saveexec_b64 s[64:65], s[54:55]
	s_cbranch_execz .LBB4_483
	s_branch .LBB4_482
.LBB4_488:                              ;   in Loop: Header=BB4_485 Depth=2
	s_add_i32 s66, s66, 1
	s_mov_b64 s[52:53], -1
                                        ; implicit-def: $vgpr2
	s_and_saveexec_b64 s[64:65], s[54:55]
	s_cbranch_execz .LBB4_483
	s_branch .LBB4_482
.LBB4_489:                              ;   in Loop: Header=BB4_77 Depth=1
	s_or_b64 exec, exec, s[30:31]
	s_xor_b64 s[40:41], s[34:35], -1
	s_and_saveexec_b64 vcc, s[40:41]
	s_xor_b64 s[40:41], exec, vcc
	s_cbranch_execz .LBB4_491
; %bb.490:                              ;   in Loop: Header=BB4_77 Depth=1
	v_or_b32_e32 v112, 64, v112
	s_waitcnt lgkmcnt(0)
	ds_write_b32 v0, v2
	s_trap 2
.LBB4_491:                              ;   in Loop: Header=BB4_77 Depth=1
	s_or_b64 exec, exec, s[40:41]
.LBB4_492:                              ;   in Loop: Header=BB4_77 Depth=1
	s_or_b64 exec, exec, s[94:95]
	v_and_b32_e32 v2, 0x100, v112
	v_cmp_ne_u32_e32 vcc, 0, v2
	v_and_b32_e32 v2, 7, v8
	s_mov_b64 s[40:41], -1
	;;#ASMSTART
	s_wakeup
	;;#ASMEND
                                        ; implicit-def: $vgpr8_vgpr9
	s_and_saveexec_b64 s[94:95], vcc
	s_cbranch_execz .LBB4_496
; %bb.493:                              ;   in Loop: Header=BB4_77 Depth=1
	v_mad_u64_u32 v[82:83], s[40:41], v2, 24, v[6:7]
	flat_load_dword v8, v[82:83]
	v_ashrrev_i32_e32 v11, 31, v10
	flat_store_dwordx2 v[82:83], v[10:11] offset:8
	s_waitcnt vmcnt(0) lgkmcnt(0)
	v_cmp_ne_u32_e32 vcc, 1, v8
	v_cmp_eq_u32_e64 s[40:41], 1, v8
                                        ; implicit-def: $vgpr8_vgpr9
	s_and_saveexec_b64 s[30:31], s[40:41]
	s_cbranch_execz .LBB4_495
; %bb.494:                              ;   in Loop: Header=BB4_77 Depth=1
	flat_load_dword v8, v[82:83] offset:4 sc0 sc1
	s_waitcnt vmcnt(0) lgkmcnt(0)
	v_ashrrev_i32_e32 v9, 31, v8
.LBB4_495:                              ;   in Loop: Header=BB4_77 Depth=1
	s_or_b64 exec, exec, s[30:31]
	s_orn2_b64 s[40:41], vcc, exec
.LBB4_496:                              ;   in Loop: Header=BB4_77 Depth=1
	s_or_b64 exec, exec, s[94:95]
	s_and_saveexec_b64 s[94:95], s[40:41]
; %bb.497:                              ;   in Loop: Header=BB4_77 Depth=1
	v_mad_i64_i32 v[8:9], s[40:41], v2, v22, 0
; %bb.498:                              ;   in Loop: Header=BB4_77 Depth=1
	s_or_b64 exec, exec, s[94:95]
	v_and_b32_e32 v2, 0x2000, v112
	v_lshl_add_u64 v[8:9], v[24:25], 0, v[8:9]
	v_cmp_ne_u32_e32 vcc, 0, v2
	ds_write_b64 v0, v[8:9] offset:792
	s_and_saveexec_b64 s[40:41], vcc
	s_cbranch_execz .LBB4_500
; %bb.499:                              ;   in Loop: Header=BB4_77 Depth=1
	ds_read_b64 v[8:9], v0 offset:872
	s_waitcnt lgkmcnt(0)
	v_lshl_add_u64 v[8:9], v[8:9], 0, 1
	ds_write_b64 v0, v[8:9] offset:872
.LBB4_500:                              ;   in Loop: Header=BB4_77 Depth=1
	s_or_b64 exec, exec, s[40:41]
	v_mov_b64_e32 v[8:9], v[12:13]
.LBB4_501:                              ;   in Loop: Header=BB4_77 Depth=1
	s_or_b64 exec, exec, s[44:45]
	s_and_saveexec_b64 s[40:41], s[10:11]
	s_cbranch_execz .LBB4_543
; %bb.502:                              ;   in Loop: Header=BB4_77 Depth=1
	s_and_saveexec_b64 s[44:45], s[60:61]
	s_xor_b64 s[44:45], exec, s[44:45]
	s_cbranch_execz .LBB4_540
; %bb.503:                              ;   in Loop: Header=BB4_77 Depth=1
	s_and_saveexec_b64 s[94:95], s[16:17]
	s_cbranch_execz .LBB4_539
; %bb.504:                              ;   in Loop: Header=BB4_77 Depth=1
	s_mov_b64 s[34:35], exec
	v_mbcnt_lo_u32_b32 v2, s34, 0
	v_mbcnt_hi_u32_b32 v2, s35, v2
	v_cmp_eq_u32_e32 vcc, 0, v2
	s_waitcnt lgkmcnt(0)
	s_and_saveexec_b64 s[30:31], vcc
	s_cbranch_execz .LBB4_506
; %bb.505:                              ;   in Loop: Header=BB4_77 Depth=1
	s_bcnt1_i32_b64 vcc_lo, s[34:35]
	v_mov_b32_e32 v2, vcc_lo
	ds_add_u64 v0, v[2:3]
	s_trap 2
.LBB4_506:                              ;   in Loop: Header=BB4_77 Depth=1
	s_or_b64 exec, exec, s[30:31]
	s_trap 2
	ds_read_b64 v[12:13], v0
	s_waitcnt lgkmcnt(0)
	v_lshl_add_u64 v[26:27], v[26:27], 0, v[34:35]
	v_cmp_lt_u64_e32 vcc, v[12:13], v[26:27]
	s_and_saveexec_b64 s[30:31], vcc
	s_cbranch_execz .LBB4_538
; %bb.507:                              ;   in Loop: Header=BB4_77 Depth=1
	s_mov_b32 s52, 0
	s_mov_b64 s[34:35], 0
                                        ; implicit-def: $sgpr36_sgpr37
                                        ; implicit-def: $sgpr38_sgpr39
	s_branch .LBB4_509
.LBB4_508:                              ;   in Loop: Header=BB4_509 Depth=2
	s_or_b64 exec, exec, s[50:51]
	s_and_b64 vcc, exec, vcc
	s_or_b64 s[34:35], vcc, s[34:35]
	s_andn2_b64 vcc, s[36:37], exec
	s_and_b64 s[36:37], s[38:39], exec
	s_or_b64 s[36:37], vcc, s[36:37]
	s_andn2_b64 exec, exec, s[34:35]
	s_cbranch_execz .LBB4_536
.LBB4_509:                              ;   Parent Loop BB4_77 Depth=1
                                        ; =>  This Inner Loop Header: Depth=2
	s_add_i32 s52, s52, 1
	s_cmpk_lg_i32 s52, 0x2710
	s_cselect_b64 s[48:49], -1, 0
	s_and_b64 vcc, exec, s[48:49]
	s_cbranch_vccz .LBB4_511
; %bb.510:                              ;   in Loop: Header=BB4_509 Depth=2
	s_mov_b64 vcc, -1
	s_or_b64 s[38:39], s[38:39], exec
	s_and_saveexec_b64 s[50:51], s[48:49]
	s_cbranch_execz .LBB4_508
	s_branch .LBB4_512
.LBB4_511:                              ;   in Loop: Header=BB4_509 Depth=2
	s_trap 2
	ds_read_b64 v[12:13], v0
	s_andn2_b64 s[48:49], s[48:49], exec
	s_mov_b32 s52, 0
	s_waitcnt vmcnt(0) lgkmcnt(0)
	flat_load_dword v2, v[12:13] sc0 sc1
	s_waitcnt vmcnt(0) lgkmcnt(0)
	buffer_inv sc0 sc1
	v_cmp_eq_u32_e32 vcc, 0, v2
	s_and_b64 vcc, vcc, exec
	s_or_b64 s[48:49], s[48:49], vcc
	s_mov_b64 vcc, -1
	s_or_b64 s[38:39], s[38:39], exec
	s_and_saveexec_b64 s[50:51], s[48:49]
	s_cbranch_execz .LBB4_508
.LBB4_512:                              ;   in Loop: Header=BB4_509 Depth=2
	s_sleep 1
	s_trap 2
	ds_read_b64 v[12:13], v0
	s_waitcnt lgkmcnt(0)
	s_andn2_b64 s[38:39], s[38:39], exec
	v_cmp_ge_u64_e32 vcc, v[12:13], v[26:27]
	s_orn2_b64 vcc, vcc, exec
	s_branch .LBB4_508
.LBB4_513:                              ;   in Loop: Header=BB4_77 Depth=1
	s_or_b64 exec, exec, s[30:31]
	s_and_saveexec_b64 vcc, s[34:35]
	s_xor_b64 vcc, exec, vcc
	s_cbranch_execz .LBB4_515
; %bb.514:                              ;   in Loop: Header=BB4_77 Depth=1
	ds_write_b32 v0, v114
	s_trap 2
.LBB4_515:                              ;   in Loop: Header=BB4_77 Depth=1
	s_or_b64 exec, exec, s[94:95]
	;;#ASMSTART
	s_wakeup
	;;#ASMEND
.LBB4_516:                              ;   in Loop: Header=BB4_77 Depth=1
	s_or_b64 exec, exec, s[92:93]
.LBB4_517:                              ;   in Loop: Header=BB4_77 Depth=1
	s_andn2_saveexec_b64 s[44:45], s[44:45]
	s_cbranch_execz .LBB4_519
; %bb.518:                              ;   in Loop: Header=BB4_77 Depth=1
	s_waitcnt lgkmcnt(0)
	s_barrier
.LBB4_519:                              ;   in Loop: Header=BB4_77 Depth=1
	s_or_b64 exec, exec, s[44:45]
.LBB4_520:                              ;   in Loop: Header=BB4_77 Depth=1
	s_or_b64 exec, exec, s[40:41]
	v_and_b32_e32 v11, 16, v112
	s_and_saveexec_b64 s[40:41], s[24:25]
	s_xor_b64 s[40:41], exec, s[40:41]
	s_cbranch_execz .LBB4_524
; %bb.521:                              ;   in Loop: Header=BB4_77 Depth=1
	s_trap 2
	ds_read_b32 v2, v0
	v_cmp_lt_i32_e32 vcc, 0, v10
	v_and_b32_e32 v10, 16, v112
	v_and_b32_e32 v11, 16, v112
	s_waitcnt lgkmcnt(0)
	v_readfirstlane_b32 s44, v2
	s_cmp_eq_u32 s44, 0
	s_cselect_b64 s[44:45], -1, 0
	s_and_b64 s[44:45], vcc, s[44:45]
	v_cmp_ne_u32_e32 vcc, 0, v10
	s_and_b64 s[92:93], vcc, s[44:45]
	s_and_saveexec_b64 s[44:45], s[92:93]
	s_cbranch_execz .LBB4_523
; %bb.522:                              ;   in Loop: Header=BB4_77 Depth=1
	v_mov_b32_e32 v11, 1
	buffer_wbl2 sc1
	s_waitcnt vmcnt(0)
	buffer_inv sc1
.LBB4_523:                              ;   in Loop: Header=BB4_77 Depth=1
	s_or_b64 exec, exec, s[44:45]
.LBB4_524:                              ;   in Loop: Header=BB4_77 Depth=1
	s_andn2_saveexec_b64 s[40:41], s[40:41]
	s_cbranch_execz .LBB4_566
; %bb.525:                              ;   in Loop: Header=BB4_77 Depth=1
	s_and_saveexec_b64 s[44:45], s[60:61]
	s_xor_b64 s[44:45], exec, s[44:45]
	s_cbranch_execz .LBB4_563
; %bb.526:                              ;   in Loop: Header=BB4_77 Depth=1
	s_and_saveexec_b64 s[92:93], s[16:17]
	s_cbranch_execz .LBB4_562
; %bb.527:                              ;   in Loop: Header=BB4_77 Depth=1
	s_mov_b64 s[30:31], exec
	v_mbcnt_lo_u32_b32 v2, s30, 0
	v_mbcnt_hi_u32_b32 v2, s31, v2
	v_cmp_eq_u32_e32 vcc, 0, v2
	;;#ASMSTART
	s_waitcnt lgkmcnt(0) vmcnt(0)
	;;#ASMEND
	s_and_saveexec_b64 s[94:95], vcc
	s_cbranch_execz .LBB4_529
; %bb.528:                              ;   in Loop: Header=BB4_77 Depth=1
	s_bcnt1_i32_b64 vcc_lo, s[30:31]
	v_mov_b32_e32 v2, vcc_lo
	s_waitcnt lgkmcnt(0)
	ds_add_u64 v0, v[2:3]
	s_trap 2
.LBB4_529:                              ;   in Loop: Header=BB4_77 Depth=1
	s_or_b64 exec, exec, s[94:95]
	s_trap 2
	ds_read_b64 v[12:13], v0
	s_waitcnt lgkmcnt(0)
	v_lshl_add_u64 v[26:27], v[26:27], 0, v[34:35]
	v_cmp_lt_u64_e32 vcc, v[12:13], v[26:27]
	s_and_saveexec_b64 s[94:95], vcc
	s_cbranch_execz .LBB4_561
; %bb.530:                              ;   in Loop: Header=BB4_77 Depth=1
	s_mov_b32 s50, 0
	s_mov_b64 s[30:31], 0
                                        ; implicit-def: $sgpr34_sgpr35
                                        ; implicit-def: $sgpr36_sgpr37
	s_branch .LBB4_532
.LBB4_531:                              ;   in Loop: Header=BB4_532 Depth=2
	s_or_b64 exec, exec, s[48:49]
	s_and_b64 vcc, exec, vcc
	s_or_b64 s[30:31], vcc, s[30:31]
	s_andn2_b64 vcc, s[34:35], exec
	s_and_b64 s[34:35], s[36:37], exec
	s_or_b64 s[34:35], vcc, s[34:35]
	s_andn2_b64 exec, exec, s[30:31]
	s_cbranch_execz .LBB4_559
.LBB4_532:                              ;   Parent Loop BB4_77 Depth=1
                                        ; =>  This Inner Loop Header: Depth=2
	s_add_i32 s50, s50, 1
	s_cmpk_lg_i32 s50, 0x2710
	s_cselect_b64 s[38:39], -1, 0
	s_and_b64 vcc, exec, s[38:39]
	s_cbranch_vccz .LBB4_534
; %bb.533:                              ;   in Loop: Header=BB4_532 Depth=2
	s_mov_b64 vcc, -1
	s_or_b64 s[36:37], s[36:37], exec
	s_and_saveexec_b64 s[48:49], s[38:39]
	s_cbranch_execz .LBB4_531
	s_branch .LBB4_535
.LBB4_534:                              ;   in Loop: Header=BB4_532 Depth=2
	s_trap 2
	ds_read_b64 v[12:13], v0
	s_andn2_b64 s[38:39], s[38:39], exec
	s_mov_b32 s50, 0
	s_waitcnt vmcnt(0) lgkmcnt(0)
	flat_load_dword v2, v[12:13] sc0 sc1
	s_waitcnt vmcnt(0) lgkmcnt(0)
	buffer_inv sc0 sc1
	v_cmp_eq_u32_e32 vcc, 0, v2
	s_and_b64 vcc, vcc, exec
	s_or_b64 s[38:39], s[38:39], vcc
	s_mov_b64 vcc, -1
	s_or_b64 s[36:37], s[36:37], exec
	s_and_saveexec_b64 s[48:49], s[38:39]
	s_cbranch_execz .LBB4_531
.LBB4_535:                              ;   in Loop: Header=BB4_532 Depth=2
	s_sleep 1
	s_trap 2
	ds_read_b64 v[12:13], v0
	s_waitcnt lgkmcnt(0)
	s_andn2_b64 s[36:37], s[36:37], exec
	v_cmp_ge_u64_e32 vcc, v[12:13], v[26:27]
	s_orn2_b64 vcc, vcc, exec
	s_branch .LBB4_531
.LBB4_536:                              ;   in Loop: Header=BB4_77 Depth=1
	s_or_b64 exec, exec, s[34:35]
	s_and_saveexec_b64 vcc, s[36:37]
	s_xor_b64 vcc, exec, vcc
	s_cbranch_execz .LBB4_538
; %bb.537:                              ;   in Loop: Header=BB4_77 Depth=1
	ds_write_b32 v0, v114
	s_trap 2
.LBB4_538:                              ;   in Loop: Header=BB4_77 Depth=1
	s_or_b64 exec, exec, s[30:31]
	;;#ASMSTART
	s_wakeup
	;;#ASMEND
.LBB4_539:                              ;   in Loop: Header=BB4_77 Depth=1
	s_or_b64 exec, exec, s[94:95]
.LBB4_540:                              ;   in Loop: Header=BB4_77 Depth=1
	s_andn2_saveexec_b64 s[44:45], s[44:45]
	s_cbranch_execz .LBB4_542
; %bb.541:                              ;   in Loop: Header=BB4_77 Depth=1
	s_waitcnt lgkmcnt(0)
	s_barrier
.LBB4_542:                              ;   in Loop: Header=BB4_77 Depth=1
	s_or_b64 exec, exec, s[44:45]
.LBB4_543:                              ;   in Loop: Header=BB4_77 Depth=1
	s_or_b64 exec, exec, s[40:41]
	v_and_b32_e32 v11, 16, v112
	s_and_saveexec_b64 s[40:41], s[24:25]
	s_xor_b64 s[40:41], exec, s[40:41]
	s_cbranch_execz .LBB4_547
; %bb.544:                              ;   in Loop: Header=BB4_77 Depth=1
	s_trap 2
	ds_read_b32 v2, v0
	v_cmp_lt_i32_e32 vcc, 0, v10
	v_and_b32_e32 v10, 16, v112
	v_and_b32_e32 v11, 16, v112
	s_waitcnt lgkmcnt(0)
	v_readfirstlane_b32 s44, v2
	s_cmp_eq_u32 s44, 0
	s_cselect_b64 s[44:45], -1, 0
	s_and_b64 s[44:45], vcc, s[44:45]
	v_cmp_ne_u32_e32 vcc, 0, v10
	s_and_b64 s[94:95], vcc, s[44:45]
	s_and_saveexec_b64 s[44:45], s[94:95]
	s_cbranch_execz .LBB4_546
; %bb.545:                              ;   in Loop: Header=BB4_77 Depth=1
	v_mov_b32_e32 v11, 1
	buffer_wbl2 sc1
	s_waitcnt vmcnt(0)
	buffer_inv sc1
.LBB4_546:                              ;   in Loop: Header=BB4_77 Depth=1
	s_or_b64 exec, exec, s[44:45]
.LBB4_547:                              ;   in Loop: Header=BB4_77 Depth=1
	s_andn2_saveexec_b64 s[40:41], s[40:41]
	s_cbranch_execz .LBB4_615
; %bb.548:                              ;   in Loop: Header=BB4_77 Depth=1
	s_and_saveexec_b64 s[44:45], s[60:61]
	s_xor_b64 s[44:45], exec, s[44:45]
	s_cbranch_execz .LBB4_612
; %bb.549:                              ;   in Loop: Header=BB4_77 Depth=1
	s_and_saveexec_b64 s[94:95], s[16:17]
	s_cbranch_execz .LBB4_611
; %bb.550:                              ;   in Loop: Header=BB4_77 Depth=1
	s_mov_b64 s[34:35], exec
	v_mbcnt_lo_u32_b32 v2, s34, 0
	v_mbcnt_hi_u32_b32 v2, s35, v2
	v_cmp_eq_u32_e32 vcc, 0, v2
	;;#ASMSTART
	s_waitcnt lgkmcnt(0) vmcnt(0)
	;;#ASMEND
	s_and_saveexec_b64 s[30:31], vcc
	s_cbranch_execz .LBB4_552
; %bb.551:                              ;   in Loop: Header=BB4_77 Depth=1
	s_bcnt1_i32_b64 vcc_lo, s[34:35]
	v_mov_b32_e32 v2, vcc_lo
	s_waitcnt lgkmcnt(0)
	ds_add_u64 v0, v[2:3]
	s_trap 2
.LBB4_552:                              ;   in Loop: Header=BB4_77 Depth=1
	s_or_b64 exec, exec, s[30:31]
	s_trap 2
	ds_read_b64 v[12:13], v0
	s_waitcnt lgkmcnt(0)
	v_lshl_add_u64 v[26:27], v[26:27], 0, v[34:35]
	v_cmp_lt_u64_e32 vcc, v[12:13], v[26:27]
	s_and_saveexec_b64 s[30:31], vcc
	s_cbranch_execz .LBB4_610
; %bb.553:                              ;   in Loop: Header=BB4_77 Depth=1
	s_mov_b32 s52, 0
	s_mov_b64 s[34:35], 0
                                        ; implicit-def: $sgpr36_sgpr37
                                        ; implicit-def: $sgpr38_sgpr39
	s_branch .LBB4_555
.LBB4_554:                              ;   in Loop: Header=BB4_555 Depth=2
	s_or_b64 exec, exec, s[50:51]
	s_and_b64 vcc, exec, vcc
	s_or_b64 s[34:35], vcc, s[34:35]
	s_andn2_b64 vcc, s[36:37], exec
	s_and_b64 s[36:37], s[38:39], exec
	s_or_b64 s[36:37], vcc, s[36:37]
	s_andn2_b64 exec, exec, s[34:35]
	s_cbranch_execz .LBB4_608
.LBB4_555:                              ;   Parent Loop BB4_77 Depth=1
                                        ; =>  This Inner Loop Header: Depth=2
	s_add_i32 s52, s52, 1
	s_cmpk_lg_i32 s52, 0x2710
	s_cselect_b64 s[48:49], -1, 0
	s_and_b64 vcc, exec, s[48:49]
	s_cbranch_vccz .LBB4_557
; %bb.556:                              ;   in Loop: Header=BB4_555 Depth=2
	s_mov_b64 vcc, -1
	s_or_b64 s[38:39], s[38:39], exec
	s_and_saveexec_b64 s[50:51], s[48:49]
	s_cbranch_execz .LBB4_554
	s_branch .LBB4_558
.LBB4_557:                              ;   in Loop: Header=BB4_555 Depth=2
	s_trap 2
	ds_read_b64 v[12:13], v0
	s_andn2_b64 s[48:49], s[48:49], exec
	s_mov_b32 s52, 0
	s_waitcnt vmcnt(0) lgkmcnt(0)
	flat_load_dword v2, v[12:13] sc0 sc1
	s_waitcnt vmcnt(0) lgkmcnt(0)
	buffer_inv sc0 sc1
	v_cmp_eq_u32_e32 vcc, 0, v2
	s_and_b64 vcc, vcc, exec
	s_or_b64 s[48:49], s[48:49], vcc
	s_mov_b64 vcc, -1
	s_or_b64 s[38:39], s[38:39], exec
	s_and_saveexec_b64 s[50:51], s[48:49]
	s_cbranch_execz .LBB4_554
.LBB4_558:                              ;   in Loop: Header=BB4_555 Depth=2
	s_sleep 1
	s_trap 2
	ds_read_b64 v[12:13], v0
	s_waitcnt lgkmcnt(0)
	s_andn2_b64 s[38:39], s[38:39], exec
	v_cmp_ge_u64_e32 vcc, v[12:13], v[26:27]
	s_orn2_b64 vcc, vcc, exec
	s_branch .LBB4_554
.LBB4_559:                              ;   in Loop: Header=BB4_77 Depth=1
	s_or_b64 exec, exec, s[30:31]
	s_and_saveexec_b64 vcc, s[34:35]
	s_xor_b64 vcc, exec, vcc
	s_cbranch_execz .LBB4_561
; %bb.560:                              ;   in Loop: Header=BB4_77 Depth=1
	ds_write_b32 v0, v114
	s_trap 2
.LBB4_561:                              ;   in Loop: Header=BB4_77 Depth=1
	s_or_b64 exec, exec, s[94:95]
	;;#ASMSTART
	s_wakeup
	;;#ASMEND
.LBB4_562:                              ;   in Loop: Header=BB4_77 Depth=1
	s_or_b64 exec, exec, s[92:93]
.LBB4_563:                              ;   in Loop: Header=BB4_77 Depth=1
	s_andn2_saveexec_b64 s[44:45], s[44:45]
	s_cbranch_execz .LBB4_565
; %bb.564:                              ;   in Loop: Header=BB4_77 Depth=1
	;;#ASMSTART
	s_waitcnt lgkmcnt(0) vmcnt(0)
	;;#ASMEND
	s_barrier
.LBB4_565:                              ;   in Loop: Header=BB4_77 Depth=1
	s_or_b64 exec, exec, s[44:45]
.LBB4_566:                              ;   in Loop: Header=BB4_77 Depth=1
	s_or_b64 exec, exec, s[40:41]
	v_cmp_ne_u32_e32 vcc, 0, v11
	s_xor_b64 s[40:41], s[12:13], -1
	s_and_b64 s[44:45], vcc, s[40:41]
	s_and_saveexec_b64 s[40:41], s[44:45]
	s_cbranch_execz .LBB4_568
; %bb.567:                              ;   in Loop: Header=BB4_77 Depth=1
	flat_store_dword v[28:29], v114 sc0 sc1
.LBB4_568:                              ;   in Loop: Header=BB4_77 Depth=1
	s_or_b64 exec, exec, s[40:41]
	v_and_b32_e32 v2, 48, v112
	v_cmp_ne_u32_e32 vcc, 0, v2
	s_and_b64 s[40:41], vcc, exec
.LBB4_569:                              ;   in Loop: Header=BB4_77 Depth=1
	s_or_b64 exec, exec, s[42:43]
	s_and_b64 s[42:43], s[40:41], exec
                                        ; implicit-def: $vgpr82
                                        ; implicit-def: $vgpr41
                                        ; implicit-def: $vgpr10_vgpr11
.LBB4_570:                              ;   in Loop: Header=BB4_77 Depth=1
	s_andn2_saveexec_b64 s[44:45], s[88:89]
	s_cbranch_execz .LBB4_1000
; %bb.571:                              ;   in Loop: Header=BB4_77 Depth=1
	v_mov_b32_e32 v83, 0
	s_and_saveexec_b64 s[88:89], s[28:29]
	s_cbranch_execz .LBB4_850
; %bb.572:                              ;   in Loop: Header=BB4_77 Depth=1
	s_and_saveexec_b64 s[40:41], s[0:1]
	s_cbranch_execz .LBB4_574
; %bb.573:                              ;   in Loop: Header=BB4_77 Depth=1
	s_trap 2
	ds_read_b128 v[84:87], v0
	s_waitcnt lgkmcnt(0)
	v_lshl_add_u64 v[12:13], v[84:85], 0, v[10:11]
	v_lshl_add_u64 v[10:11], v[86:87], 0, v[10:11]
	v_cmp_ne_u64_e32 vcc, 0, v[86:87]
	ds_write_b64 v0, v[12:13]
	s_nop 0
	v_cndmask_b32_e32 v11, 0, v11, vcc
	v_cndmask_b32_e32 v10, 0, v10, vcc
	ds_write_b64 v0, v[10:11]
.LBB4_574:                              ;   in Loop: Header=BB4_77 Depth=1
	s_or_b64 exec, exec, s[40:41]
	v_and_b32_e32 v2, 4, v112
	v_cmp_ne_u32_e32 vcc, 0, v2
	s_and_saveexec_b64 s[92:93], vcc
	s_cbranch_execz .LBB4_596
; %bb.575:                              ;   in Loop: Header=BB4_77 Depth=1
	v_lshl_add_u64 v[10:11], v[8:9], 0, 1
	s_waitcnt vmcnt(0) lgkmcnt(0)
	v_cmp_lt_u64_e32 vcc, v[32:33], v[10:11]
	s_and_saveexec_b64 s[94:95], vcc
	s_cbranch_execz .LBB4_587
; %bb.576:                              ;   in Loop: Header=BB4_77 Depth=1
	v_and_b32_e32 v2, 64, v112
	s_mov_b32 s66, 0
	v_cmp_eq_u32_e32 vcc, 0, v2
	s_mov_b64 s[30:31], 0
                                        ; implicit-def: $sgpr34_sgpr35
                                        ; implicit-def: $sgpr36_sgpr37
                                        ; implicit-def: $sgpr38_sgpr39
	s_branch .LBB4_580
.LBB4_577:                              ;   in Loop: Header=BB4_580 Depth=2
	s_waitcnt vmcnt(0) lgkmcnt(0)
	v_cmp_ge_u64_e64 s[40:41], v[32:33], v[10:11]
	s_or_b64 s[52:53], s[52:53], exec
	s_orn2_b64 s[50:51], s[40:41], exec
.LBB4_578:                              ;   in Loop: Header=BB4_580 Depth=2
	s_or_b64 exec, exec, s[64:65]
	s_andn2_b64 s[40:41], s[38:39], exec
	s_and_b64 s[38:39], s[52:53], exec
	s_or_b64 s[38:39], s[40:41], s[38:39]
	s_andn2_b64 s[40:41], s[36:37], exec
	s_and_b64 s[36:37], s[50:51], exec
	s_or_b64 s[36:37], s[40:41], s[36:37]
.LBB4_579:                              ;   in Loop: Header=BB4_580 Depth=2
	s_or_b64 exec, exec, s[48:49]
	s_and_b64 s[40:41], exec, s[36:37]
	s_or_b64 s[30:31], s[40:41], s[30:31]
	s_andn2_b64 s[40:41], s[34:35], exec
	s_and_b64 s[34:35], s[38:39], exec
	s_or_b64 s[34:35], s[40:41], s[34:35]
	s_andn2_b64 exec, exec, s[30:31]
	s_cbranch_execz .LBB4_584
.LBB4_580:                              ;   Parent Loop BB4_77 Depth=1
                                        ; =>  This Inner Loop Header: Depth=2
	s_sleep 1
	s_waitcnt vmcnt(0) lgkmcnt(0)
	flat_load_dwordx2 v[32:33], v[20:21] sc0 sc1
	s_or_b64 s[38:39], s[38:39], exec
	s_or_b64 s[36:37], s[36:37], exec
                                        ; implicit-def: $vgpr2
	s_and_saveexec_b64 s[48:49], vcc
	s_cbranch_execz .LBB4_579
; %bb.581:                              ;   in Loop: Header=BB4_580 Depth=2
	s_cmpk_lt_i32 s66, 0x270f
	s_cselect_b64 s[54:55], -1, 0
	s_cmpk_gt_i32 s66, 0x270e
	s_mov_b64 s[50:51], -1
	s_cbranch_scc0 .LBB4_583
; %bb.582:                              ;   in Loop: Header=BB4_580 Depth=2
	s_trap 2
	ds_read_b64 v[12:13], v0
	s_andn2_b64 s[54:55], s[54:55], exec
	s_mov_b32 s66, 0
	s_mov_b64 s[52:53], 0
	s_waitcnt vmcnt(0) lgkmcnt(0)
	flat_load_dword v2, v[12:13] sc0 sc1
	s_waitcnt vmcnt(0) lgkmcnt(0)
	buffer_inv sc0 sc1
	v_cmp_eq_u32_e64 s[40:41], 0, v2
	s_and_b64 s[40:41], s[40:41], exec
	s_or_b64 s[54:55], s[54:55], s[40:41]
	s_and_saveexec_b64 s[64:65], s[54:55]
	s_cbranch_execz .LBB4_578
	s_branch .LBB4_577
.LBB4_583:                              ;   in Loop: Header=BB4_580 Depth=2
	s_add_i32 s66, s66, 1
	s_mov_b64 s[52:53], -1
                                        ; implicit-def: $vgpr2
	s_and_saveexec_b64 s[64:65], s[54:55]
	s_cbranch_execz .LBB4_578
	s_branch .LBB4_577
.LBB4_584:                              ;   in Loop: Header=BB4_77 Depth=1
	s_or_b64 exec, exec, s[30:31]
	s_xor_b64 s[40:41], s[34:35], -1
	s_and_saveexec_b64 vcc, s[40:41]
	s_xor_b64 s[40:41], exec, vcc
	s_cbranch_execz .LBB4_586
; %bb.585:                              ;   in Loop: Header=BB4_77 Depth=1
	v_or_b32_e32 v112, 64, v112
	s_waitcnt lgkmcnt(0)
	ds_write_b32 v0, v2
	s_trap 2
.LBB4_586:                              ;   in Loop: Header=BB4_77 Depth=1
	s_or_b64 exec, exec, s[40:41]
.LBB4_587:                              ;   in Loop: Header=BB4_77 Depth=1
	s_or_b64 exec, exec, s[94:95]
	v_and_b32_e32 v2, 0x100, v112
	v_cmp_ne_u32_e32 vcc, 0, v2
	v_and_b32_e32 v2, 7, v8
	s_mov_b64 s[40:41], -1
	;;#ASMSTART
	s_wakeup
	;;#ASMEND
                                        ; implicit-def: $vgpr8_vgpr9
	s_and_saveexec_b64 s[94:95], vcc
	s_cbranch_execz .LBB4_591
; %bb.588:                              ;   in Loop: Header=BB4_77 Depth=1
	v_mad_u64_u32 v[12:13], s[40:41], v2, 24, v[6:7]
	flat_load_dword v8, v[12:13]
	s_waitcnt vmcnt(0) lgkmcnt(0)
	v_cmp_ne_u32_e32 vcc, 1, v8
	v_cmp_eq_u32_e64 s[40:41], 1, v8
                                        ; implicit-def: $vgpr8_vgpr9
	s_and_saveexec_b64 s[30:31], s[40:41]
	s_cbranch_execz .LBB4_590
; %bb.589:                              ;   in Loop: Header=BB4_77 Depth=1
	flat_load_dword v8, v[12:13] offset:4 sc0 sc1
	s_waitcnt vmcnt(0) lgkmcnt(0)
	v_ashrrev_i32_e32 v9, 31, v8
.LBB4_590:                              ;   in Loop: Header=BB4_77 Depth=1
	s_or_b64 exec, exec, s[30:31]
	s_orn2_b64 s[40:41], vcc, exec
.LBB4_591:                              ;   in Loop: Header=BB4_77 Depth=1
	s_or_b64 exec, exec, s[94:95]
	s_and_saveexec_b64 s[94:95], s[40:41]
; %bb.592:                              ;   in Loop: Header=BB4_77 Depth=1
	v_mad_i64_i32 v[8:9], s[40:41], v2, v22, 0
; %bb.593:                              ;   in Loop: Header=BB4_77 Depth=1
	s_or_b64 exec, exec, s[94:95]
	v_and_b32_e32 v2, 0x2000, v112
	v_lshl_add_u64 v[8:9], v[24:25], 0, v[8:9]
	v_cmp_ne_u32_e32 vcc, 0, v2
	ds_write_b64 v0, v[8:9] offset:720
	s_and_saveexec_b64 s[40:41], vcc
	s_cbranch_execz .LBB4_595
; %bb.594:                              ;   in Loop: Header=BB4_77 Depth=1
	ds_read_b64 v[8:9], v0 offset:872
	s_waitcnt lgkmcnt(0)
	v_lshl_add_u64 v[8:9], v[8:9], 0, 1
	ds_write_b64 v0, v[8:9] offset:872
.LBB4_595:                              ;   in Loop: Header=BB4_77 Depth=1
	s_or_b64 exec, exec, s[40:41]
	v_mov_b64_e32 v[8:9], v[10:11]
.LBB4_596:                              ;   in Loop: Header=BB4_77 Depth=1
	s_or_b64 exec, exec, s[92:93]
	s_and_saveexec_b64 s[40:41], s[10:11]
	s_cbranch_execz .LBB4_664
; %bb.597:                              ;   in Loop: Header=BB4_77 Depth=1
	s_and_saveexec_b64 s[92:93], s[60:61]
	s_xor_b64 s[92:93], exec, s[92:93]
	s_cbranch_execz .LBB4_661
; %bb.598:                              ;   in Loop: Header=BB4_77 Depth=1
	s_and_saveexec_b64 s[94:95], s[16:17]
	s_cbranch_execz .LBB4_660
; %bb.599:                              ;   in Loop: Header=BB4_77 Depth=1
	s_mov_b64 s[34:35], exec
	v_mbcnt_lo_u32_b32 v2, s34, 0
	v_mbcnt_hi_u32_b32 v2, s35, v2
	v_cmp_eq_u32_e32 vcc, 0, v2
	s_waitcnt lgkmcnt(0)
	s_and_saveexec_b64 s[30:31], vcc
	s_cbranch_execz .LBB4_601
; %bb.600:                              ;   in Loop: Header=BB4_77 Depth=1
	s_bcnt1_i32_b64 vcc_lo, s[34:35]
	v_mov_b32_e32 v2, vcc_lo
	ds_add_u64 v0, v[2:3]
	s_trap 2
.LBB4_601:                              ;   in Loop: Header=BB4_77 Depth=1
	s_or_b64 exec, exec, s[30:31]
	s_trap 2
	ds_read_b64 v[10:11], v0
	s_waitcnt lgkmcnt(0)
	v_lshl_add_u64 v[26:27], v[26:27], 0, v[34:35]
	v_cmp_lt_u64_e32 vcc, v[10:11], v[26:27]
	s_and_saveexec_b64 s[30:31], vcc
	s_cbranch_execz .LBB4_659
; %bb.602:                              ;   in Loop: Header=BB4_77 Depth=1
	s_mov_b32 s52, 0
	s_mov_b64 s[34:35], 0
                                        ; implicit-def: $sgpr36_sgpr37
                                        ; implicit-def: $sgpr38_sgpr39
	s_branch .LBB4_604
.LBB4_603:                              ;   in Loop: Header=BB4_604 Depth=2
	s_or_b64 exec, exec, s[50:51]
	s_and_b64 vcc, exec, vcc
	s_or_b64 s[34:35], vcc, s[34:35]
	s_andn2_b64 vcc, s[36:37], exec
	s_and_b64 s[36:37], s[38:39], exec
	s_or_b64 s[36:37], vcc, s[36:37]
	s_andn2_b64 exec, exec, s[34:35]
	s_cbranch_execz .LBB4_657
.LBB4_604:                              ;   Parent Loop BB4_77 Depth=1
                                        ; =>  This Inner Loop Header: Depth=2
	s_add_i32 s52, s52, 1
	s_cmpk_lg_i32 s52, 0x2710
	s_cselect_b64 s[48:49], -1, 0
	s_and_b64 vcc, exec, s[48:49]
	s_cbranch_vccz .LBB4_606
; %bb.605:                              ;   in Loop: Header=BB4_604 Depth=2
	s_mov_b64 vcc, -1
	s_or_b64 s[38:39], s[38:39], exec
	s_and_saveexec_b64 s[50:51], s[48:49]
	s_cbranch_execz .LBB4_603
	s_branch .LBB4_607
.LBB4_606:                              ;   in Loop: Header=BB4_604 Depth=2
	s_trap 2
	ds_read_b64 v[10:11], v0
	s_andn2_b64 s[48:49], s[48:49], exec
	s_mov_b32 s52, 0
	s_waitcnt vmcnt(0) lgkmcnt(0)
	flat_load_dword v2, v[10:11] sc0 sc1
	s_waitcnt vmcnt(0) lgkmcnt(0)
	buffer_inv sc0 sc1
	v_cmp_eq_u32_e32 vcc, 0, v2
	s_and_b64 vcc, vcc, exec
	s_or_b64 s[48:49], s[48:49], vcc
	s_mov_b64 vcc, -1
	s_or_b64 s[38:39], s[38:39], exec
	s_and_saveexec_b64 s[50:51], s[48:49]
	s_cbranch_execz .LBB4_603
.LBB4_607:                              ;   in Loop: Header=BB4_604 Depth=2
	s_sleep 1
	s_trap 2
	ds_read_b64 v[10:11], v0
	s_waitcnt lgkmcnt(0)
	s_andn2_b64 s[38:39], s[38:39], exec
	v_cmp_ge_u64_e32 vcc, v[10:11], v[26:27]
	s_orn2_b64 vcc, vcc, exec
	s_branch .LBB4_603
.LBB4_608:                              ;   in Loop: Header=BB4_77 Depth=1
	s_or_b64 exec, exec, s[34:35]
	s_and_saveexec_b64 vcc, s[36:37]
	s_xor_b64 vcc, exec, vcc
	s_cbranch_execz .LBB4_610
; %bb.609:                              ;   in Loop: Header=BB4_77 Depth=1
	ds_write_b32 v0, v114
	s_trap 2
.LBB4_610:                              ;   in Loop: Header=BB4_77 Depth=1
	s_or_b64 exec, exec, s[30:31]
	;;#ASMSTART
	s_wakeup
	;;#ASMEND
.LBB4_611:                              ;   in Loop: Header=BB4_77 Depth=1
	s_or_b64 exec, exec, s[94:95]
.LBB4_612:                              ;   in Loop: Header=BB4_77 Depth=1
	s_andn2_saveexec_b64 s[44:45], s[44:45]
	s_cbranch_execz .LBB4_614
; %bb.613:                              ;   in Loop: Header=BB4_77 Depth=1
	;;#ASMSTART
	s_waitcnt lgkmcnt(0) vmcnt(0)
	;;#ASMEND
	s_barrier
.LBB4_614:                              ;   in Loop: Header=BB4_77 Depth=1
	s_or_b64 exec, exec, s[44:45]
.LBB4_615:                              ;   in Loop: Header=BB4_77 Depth=1
	s_or_b64 exec, exec, s[40:41]
	v_cmp_ne_u32_e32 vcc, 0, v11
	s_mov_b64 s[44:45], 0
	s_mov_b64 s[40:41], s[88:89]
	s_and_saveexec_b64 s[94:95], vcc
	s_xor_b64 s[94:95], exec, s[94:95]
; %bb.616:                              ;   in Loop: Header=BB4_77 Depth=1
	s_andn2_b64 s[40:41], s[88:89], exec
	s_and_b64 s[44:45], s[12:13], exec
	s_or_b64 s[40:41], s[40:41], s[44:45]
	s_and_b64 s[44:45], s[14:15], exec
; %bb.617:                              ;   in Loop: Header=BB4_77 Depth=1
	s_or_b64 exec, exec, s[94:95]
	s_andn2_b64 s[94:95], s[88:89], exec
	s_and_b64 s[40:41], s[40:41], exec
	s_or_b64 s[40:41], s[94:95], s[40:41]
	s_and_b64 s[44:45], s[44:45], exec
.LBB4_618:                              ;   in Loop: Header=BB4_77 Depth=1
	s_or_b64 exec, exec, s[42:43]
	s_andn2_b64 s[42:43], s[88:89], exec
	s_and_b64 s[40:41], s[40:41], exec
	s_or_b64 s[40:41], s[42:43], s[40:41]
	s_and_b64 s[42:43], s[44:45], exec
                                        ; implicit-def: $vgpr82
                                        ; implicit-def: $vgpr41
                                        ; implicit-def: $vgpr10_vgpr11
.LBB4_619:                              ;   in Loop: Header=BB4_77 Depth=1
	s_andn2_saveexec_b64 s[44:45], s[92:93]
	s_cbranch_execz .LBB4_988
; %bb.620:                              ;   in Loop: Header=BB4_77 Depth=1
	v_mov_b32_e32 v2, 0
	s_and_saveexec_b64 s[92:93], s[28:29]
	s_cbranch_execz .LBB4_900
; %bb.621:                              ;   in Loop: Header=BB4_77 Depth=1
	s_and_saveexec_b64 s[28:29], s[0:1]
	s_cbranch_execz .LBB4_623
; %bb.622:                              ;   in Loop: Header=BB4_77 Depth=1
	s_trap 2
	ds_read_b64 v[12:13], v0
	s_waitcnt lgkmcnt(0)
	v_lshl_add_u64 v[10:11], v[12:13], 0, v[10:11]
	ds_write_b64 v0, v[10:11]
	ds_write_b64 v0, v[56:57]
.LBB4_623:                              ;   in Loop: Header=BB4_77 Depth=1
	s_or_b64 exec, exec, s[28:29]
	v_and_b32_e32 v2, 8, v112
	v_min_i32_e32 v82, v82, v41
	v_cmp_ne_u32_e32 vcc, 0, v2
	s_and_saveexec_b64 s[94:95], vcc
	s_cbranch_execz .LBB4_645
; %bb.624:                              ;   in Loop: Header=BB4_77 Depth=1
	s_waitcnt vmcnt(0) lgkmcnt(0)
	v_lshl_add_u64 v[12:13], v[32:33], 0, 8
	v_lshl_add_u64 v[10:11], v[8:9], 0, 1
	v_cmp_lt_u64_e32 vcc, v[12:13], v[10:11]
	s_and_saveexec_b64 s[30:31], vcc
	s_cbranch_execz .LBB4_636
; %bb.625:                              ;   in Loop: Header=BB4_77 Depth=1
	v_and_b32_e32 v2, 64, v112
	s_mov_b32 s71, 0
	v_cmp_eq_u32_e32 vcc, 0, v2
	s_mov_b64 s[34:35], 0
                                        ; implicit-def: $sgpr36_sgpr37
                                        ; implicit-def: $sgpr38_sgpr39
                                        ; implicit-def: $sgpr48_sgpr49
	s_branch .LBB4_629
.LBB4_626:                              ;   in Loop: Header=BB4_629 Depth=2
	s_waitcnt vmcnt(0) lgkmcnt(0)
	v_lshl_add_u64 v[12:13], v[32:33], 0, 8
	v_cmp_ge_u64_e64 s[28:29], v[12:13], v[10:11]
	s_or_b64 s[54:55], s[54:55], exec
	s_orn2_b64 s[52:53], s[28:29], exec
.LBB4_627:                              ;   in Loop: Header=BB4_629 Depth=2
	s_or_b64 exec, exec, s[66:67]
	s_andn2_b64 s[28:29], s[48:49], exec
	s_and_b64 s[48:49], s[54:55], exec
	s_or_b64 s[48:49], s[28:29], s[48:49]
	s_andn2_b64 s[28:29], s[38:39], exec
	s_and_b64 s[38:39], s[52:53], exec
	s_or_b64 s[38:39], s[28:29], s[38:39]
.LBB4_628:                              ;   in Loop: Header=BB4_629 Depth=2
	s_or_b64 exec, exec, s[50:51]
	s_and_b64 s[28:29], exec, s[38:39]
	s_or_b64 s[34:35], s[28:29], s[34:35]
	s_andn2_b64 s[28:29], s[36:37], exec
	s_and_b64 s[36:37], s[48:49], exec
	s_or_b64 s[36:37], s[28:29], s[36:37]
	s_andn2_b64 exec, exec, s[34:35]
	s_cbranch_execz .LBB4_633
.LBB4_629:                              ;   Parent Loop BB4_77 Depth=1
                                        ; =>  This Inner Loop Header: Depth=2
	s_sleep 1
	s_waitcnt vmcnt(0) lgkmcnt(0)
	flat_load_dwordx2 v[32:33], v[20:21] sc0 sc1
	s_or_b64 s[48:49], s[48:49], exec
	s_or_b64 s[38:39], s[38:39], exec
                                        ; implicit-def: $vgpr2
	s_and_saveexec_b64 s[50:51], vcc
	s_cbranch_execz .LBB4_628
; %bb.630:                              ;   in Loop: Header=BB4_629 Depth=2
	s_cmpk_lt_i32 s71, 0x270f
	s_cselect_b64 s[64:65], -1, 0
	s_cmpk_gt_i32 s71, 0x270e
	s_mov_b64 s[52:53], -1
	s_cbranch_scc0 .LBB4_632
; %bb.631:                              ;   in Loop: Header=BB4_629 Depth=2
	s_trap 2
	ds_read_b64 v[12:13], v0
	s_andn2_b64 s[64:65], s[64:65], exec
	s_mov_b32 s71, 0
	s_mov_b64 s[54:55], 0
	s_waitcnt vmcnt(0) lgkmcnt(0)
	flat_load_dword v2, v[12:13] sc0 sc1
	s_waitcnt vmcnt(0) lgkmcnt(0)
	buffer_inv sc0 sc1
	v_cmp_eq_u32_e64 s[28:29], 0, v2
	s_and_b64 s[28:29], s[28:29], exec
	s_or_b64 s[64:65], s[64:65], s[28:29]
	s_and_saveexec_b64 s[66:67], s[64:65]
	s_cbranch_execz .LBB4_627
	s_branch .LBB4_626
.LBB4_632:                              ;   in Loop: Header=BB4_629 Depth=2
	s_add_i32 s71, s71, 1
	s_mov_b64 s[54:55], -1
                                        ; implicit-def: $vgpr2
	s_and_saveexec_b64 s[66:67], s[64:65]
	s_cbranch_execz .LBB4_627
	s_branch .LBB4_626
.LBB4_633:                              ;   in Loop: Header=BB4_77 Depth=1
	s_or_b64 exec, exec, s[34:35]
	s_xor_b64 s[28:29], s[36:37], -1
	s_and_saveexec_b64 vcc, s[28:29]
	s_xor_b64 s[28:29], exec, vcc
	s_cbranch_execz .LBB4_635
; %bb.634:                              ;   in Loop: Header=BB4_77 Depth=1
	v_or_b32_e32 v112, 64, v112
	s_waitcnt lgkmcnt(0)
	ds_write_b32 v0, v2
	s_trap 2
.LBB4_635:                              ;   in Loop: Header=BB4_77 Depth=1
	s_or_b64 exec, exec, s[28:29]
.LBB4_636:                              ;   in Loop: Header=BB4_77 Depth=1
	s_or_b64 exec, exec, s[30:31]
	v_and_b32_e32 v2, 0x100, v112
	v_cmp_ne_u32_e32 vcc, 0, v2
	v_and_b32_e32 v2, 7, v8
	s_mov_b64 s[28:29], -1
	;;#ASMSTART
	s_wakeup
	;;#ASMEND
                                        ; implicit-def: $vgpr8_vgpr9
	s_and_saveexec_b64 s[30:31], vcc
	s_cbranch_execz .LBB4_640
; %bb.637:                              ;   in Loop: Header=BB4_77 Depth=1
	v_mad_u64_u32 v[12:13], s[28:29], v2, 24, v[6:7]
	flat_load_dword v8, v[12:13]
	v_ashrrev_i32_e32 v83, 31, v82
	flat_store_dwordx2 v[12:13], v[82:83] offset:8
	s_waitcnt vmcnt(0) lgkmcnt(0)
	v_cmp_ne_u32_e32 vcc, 1, v8
	v_cmp_eq_u32_e64 s[28:29], 1, v8
                                        ; implicit-def: $vgpr8_vgpr9
	s_and_saveexec_b64 s[34:35], s[28:29]
	s_cbranch_execz .LBB4_639
; %bb.638:                              ;   in Loop: Header=BB4_77 Depth=1
	flat_load_dword v8, v[12:13] offset:4 sc0 sc1
	s_waitcnt vmcnt(0) lgkmcnt(0)
	v_ashrrev_i32_e32 v9, 31, v8
.LBB4_639:                              ;   in Loop: Header=BB4_77 Depth=1
	s_or_b64 exec, exec, s[34:35]
	s_orn2_b64 s[28:29], vcc, exec
.LBB4_640:                              ;   in Loop: Header=BB4_77 Depth=1
	s_or_b64 exec, exec, s[30:31]
	s_and_saveexec_b64 vcc, s[28:29]
; %bb.641:                              ;   in Loop: Header=BB4_77 Depth=1
	v_mad_i64_i32 v[8:9], s[28:29], v2, v22, 0
; %bb.642:                              ;   in Loop: Header=BB4_77 Depth=1
	s_or_b64 exec, exec, vcc
	v_and_b32_e32 v2, 0x2000, v112
	v_lshl_add_u64 v[8:9], v[24:25], 0, v[8:9]
	v_cmp_ne_u32_e32 vcc, 0, v2
	ds_write_b64 v0, v[8:9] offset:784
	s_and_saveexec_b64 s[28:29], vcc
	s_cbranch_execz .LBB4_644
; %bb.643:                              ;   in Loop: Header=BB4_77 Depth=1
	ds_read_b64 v[8:9], v0 offset:872
	s_waitcnt lgkmcnt(0)
	v_lshl_add_u64 v[8:9], v[8:9], 0, 1
	ds_write_b64 v0, v[8:9] offset:872
.LBB4_644:                              ;   in Loop: Header=BB4_77 Depth=1
	s_or_b64 exec, exec, s[28:29]
	v_mov_b64_e32 v[8:9], v[10:11]
.LBB4_645:                              ;   in Loop: Header=BB4_77 Depth=1
	s_or_b64 exec, exec, s[94:95]
	s_and_saveexec_b64 s[28:29], s[10:11]
	s_cbranch_execz .LBB4_683
; %bb.646:                              ;   in Loop: Header=BB4_77 Depth=1
	s_and_saveexec_b64 s[94:95], s[60:61]
	s_xor_b64 s[94:95], exec, s[94:95]
	s_cbranch_execz .LBB4_680
; %bb.647:                              ;   in Loop: Header=BB4_77 Depth=1
	s_and_saveexec_b64 s[30:31], s[16:17]
	s_cbranch_execz .LBB4_679
; %bb.648:                              ;   in Loop: Header=BB4_77 Depth=1
	s_mov_b64 s[36:37], exec
	v_mbcnt_lo_u32_b32 v2, s36, 0
	v_mbcnt_hi_u32_b32 v2, s37, v2
	v_cmp_eq_u32_e32 vcc, 0, v2
	s_waitcnt lgkmcnt(0)
	s_and_saveexec_b64 s[34:35], vcc
	s_cbranch_execz .LBB4_650
; %bb.649:                              ;   in Loop: Header=BB4_77 Depth=1
	s_bcnt1_i32_b64 vcc_lo, s[36:37]
	v_mov_b32_e32 v2, vcc_lo
	ds_add_u64 v0, v[2:3]
	s_trap 2
.LBB4_650:                              ;   in Loop: Header=BB4_77 Depth=1
	s_or_b64 exec, exec, s[34:35]
	s_trap 2
	ds_read_b64 v[10:11], v0
	s_waitcnt lgkmcnt(0)
	v_lshl_add_u64 v[26:27], v[26:27], 0, v[34:35]
	v_cmp_lt_u64_e32 vcc, v[10:11], v[26:27]
	s_and_saveexec_b64 s[34:35], vcc
	s_cbranch_execz .LBB4_678
; %bb.651:                              ;   in Loop: Header=BB4_77 Depth=1
	s_mov_b32 s54, 0
	s_mov_b64 s[36:37], 0
                                        ; implicit-def: $sgpr38_sgpr39
                                        ; implicit-def: $sgpr48_sgpr49
	s_branch .LBB4_653
.LBB4_652:                              ;   in Loop: Header=BB4_653 Depth=2
	s_or_b64 exec, exec, s[52:53]
	s_and_b64 vcc, exec, vcc
	s_or_b64 s[36:37], vcc, s[36:37]
	s_andn2_b64 vcc, s[38:39], exec
	s_and_b64 s[38:39], s[48:49], exec
	s_or_b64 s[38:39], vcc, s[38:39]
	s_andn2_b64 exec, exec, s[36:37]
	s_cbranch_execz .LBB4_676
.LBB4_653:                              ;   Parent Loop BB4_77 Depth=1
                                        ; =>  This Inner Loop Header: Depth=2
	s_add_i32 s54, s54, 1
	s_cmpk_lg_i32 s54, 0x2710
	s_cselect_b64 s[50:51], -1, 0
	s_and_b64 vcc, exec, s[50:51]
	s_cbranch_vccz .LBB4_655
; %bb.654:                              ;   in Loop: Header=BB4_653 Depth=2
	s_mov_b64 vcc, -1
	s_or_b64 s[48:49], s[48:49], exec
	s_and_saveexec_b64 s[52:53], s[50:51]
	s_cbranch_execz .LBB4_652
	s_branch .LBB4_656
.LBB4_655:                              ;   in Loop: Header=BB4_653 Depth=2
	s_trap 2
	ds_read_b64 v[10:11], v0
	s_andn2_b64 s[50:51], s[50:51], exec
	s_mov_b32 s54, 0
	s_waitcnt vmcnt(0) lgkmcnt(0)
	flat_load_dword v2, v[10:11] sc0 sc1
	s_waitcnt vmcnt(0) lgkmcnt(0)
	buffer_inv sc0 sc1
	v_cmp_eq_u32_e32 vcc, 0, v2
	s_and_b64 vcc, vcc, exec
	s_or_b64 s[50:51], s[50:51], vcc
	s_mov_b64 vcc, -1
	s_or_b64 s[48:49], s[48:49], exec
	s_and_saveexec_b64 s[52:53], s[50:51]
	s_cbranch_execz .LBB4_652
.LBB4_656:                              ;   in Loop: Header=BB4_653 Depth=2
	s_sleep 1
	s_trap 2
	ds_read_b64 v[10:11], v0
	s_waitcnt lgkmcnt(0)
	s_andn2_b64 s[48:49], s[48:49], exec
	v_cmp_ge_u64_e32 vcc, v[10:11], v[26:27]
	s_orn2_b64 vcc, vcc, exec
	s_branch .LBB4_652
.LBB4_657:                              ;   in Loop: Header=BB4_77 Depth=1
	s_or_b64 exec, exec, s[34:35]
	s_and_saveexec_b64 vcc, s[36:37]
	s_xor_b64 vcc, exec, vcc
	s_cbranch_execz .LBB4_659
; %bb.658:                              ;   in Loop: Header=BB4_77 Depth=1
	ds_write_b32 v0, v114
	s_trap 2
.LBB4_659:                              ;   in Loop: Header=BB4_77 Depth=1
	s_or_b64 exec, exec, s[30:31]
	;;#ASMSTART
	s_wakeup
	;;#ASMEND
.LBB4_660:                              ;   in Loop: Header=BB4_77 Depth=1
	s_or_b64 exec, exec, s[94:95]
.LBB4_661:                              ;   in Loop: Header=BB4_77 Depth=1
	s_andn2_saveexec_b64 s[92:93], s[92:93]
	s_cbranch_execz .LBB4_663
; %bb.662:                              ;   in Loop: Header=BB4_77 Depth=1
	s_waitcnt lgkmcnt(0)
	s_barrier
.LBB4_663:                              ;   in Loop: Header=BB4_77 Depth=1
	s_or_b64 exec, exec, s[92:93]
.LBB4_664:                              ;   in Loop: Header=BB4_77 Depth=1
	s_or_b64 exec, exec, s[40:41]
	s_trap 2
	ds_read_b32 v83, v0
	v_and_b32_e32 v2, 0x4000, v112
	v_cmp_ne_u32_e32 vcc, 0, v2
	s_xor_b64 s[40:41], s[6:7], -1
	s_and_b64 s[92:93], s[40:41], vcc
	s_and_saveexec_b64 s[40:41], s[92:93]
	s_cbranch_execz .LBB4_702
; %bb.665:                              ;   in Loop: Header=BB4_77 Depth=1
	s_and_saveexec_b64 s[92:93], s[60:61]
	s_xor_b64 s[92:93], exec, s[92:93]
	s_cbranch_execz .LBB4_699
; %bb.666:                              ;   in Loop: Header=BB4_77 Depth=1
	s_and_saveexec_b64 s[94:95], s[16:17]
	s_cbranch_execz .LBB4_698
; %bb.667:                              ;   in Loop: Header=BB4_77 Depth=1
	s_mov_b64 s[34:35], exec
	v_mbcnt_lo_u32_b32 v2, s34, 0
	v_mbcnt_hi_u32_b32 v2, s35, v2
	v_cmp_eq_u32_e32 vcc, 0, v2
	s_waitcnt lgkmcnt(0)
	s_and_saveexec_b64 s[30:31], vcc
	s_cbranch_execz .LBB4_669
; %bb.668:                              ;   in Loop: Header=BB4_77 Depth=1
	s_bcnt1_i32_b64 vcc_lo, s[34:35]
	v_mov_b32_e32 v2, vcc_lo
	ds_add_u64 v0, v[2:3]
	s_trap 2
.LBB4_669:                              ;   in Loop: Header=BB4_77 Depth=1
	s_or_b64 exec, exec, s[30:31]
	s_trap 2
	ds_read_b64 v[10:11], v0
	s_waitcnt lgkmcnt(0)
	v_lshl_add_u64 v[26:27], v[26:27], 0, v[34:35]
	v_cmp_lt_u64_e32 vcc, v[10:11], v[26:27]
	s_and_saveexec_b64 s[30:31], vcc
	s_cbranch_execz .LBB4_697
; %bb.670:                              ;   in Loop: Header=BB4_77 Depth=1
	s_mov_b32 s52, 0
	s_mov_b64 s[34:35], 0
                                        ; implicit-def: $sgpr36_sgpr37
                                        ; implicit-def: $sgpr38_sgpr39
	s_branch .LBB4_672
.LBB4_671:                              ;   in Loop: Header=BB4_672 Depth=2
	s_or_b64 exec, exec, s[50:51]
	s_and_b64 vcc, exec, vcc
	s_or_b64 s[34:35], vcc, s[34:35]
	s_andn2_b64 vcc, s[36:37], exec
	s_and_b64 s[36:37], s[38:39], exec
	s_or_b64 s[36:37], vcc, s[36:37]
	s_andn2_b64 exec, exec, s[34:35]
	s_cbranch_execz .LBB4_695
.LBB4_672:                              ;   Parent Loop BB4_77 Depth=1
                                        ; =>  This Inner Loop Header: Depth=2
	s_add_i32 s52, s52, 1
	s_cmpk_lg_i32 s52, 0x2710
	s_cselect_b64 s[48:49], -1, 0
	s_and_b64 vcc, exec, s[48:49]
	s_cbranch_vccz .LBB4_674
; %bb.673:                              ;   in Loop: Header=BB4_672 Depth=2
	s_mov_b64 vcc, -1
	s_or_b64 s[38:39], s[38:39], exec
	s_and_saveexec_b64 s[50:51], s[48:49]
	s_cbranch_execz .LBB4_671
	s_branch .LBB4_675
.LBB4_674:                              ;   in Loop: Header=BB4_672 Depth=2
	s_trap 2
	ds_read_b64 v[10:11], v0
	s_andn2_b64 s[48:49], s[48:49], exec
	s_mov_b32 s52, 0
	s_waitcnt vmcnt(0) lgkmcnt(0)
	flat_load_dword v2, v[10:11] sc0 sc1
	s_waitcnt vmcnt(0) lgkmcnt(0)
	buffer_inv sc0 sc1
	v_cmp_eq_u32_e32 vcc, 0, v2
	s_and_b64 vcc, vcc, exec
	s_or_b64 s[48:49], s[48:49], vcc
	s_mov_b64 vcc, -1
	s_or_b64 s[38:39], s[38:39], exec
	s_and_saveexec_b64 s[50:51], s[48:49]
	s_cbranch_execz .LBB4_671
.LBB4_675:                              ;   in Loop: Header=BB4_672 Depth=2
	s_sleep 1
	s_trap 2
	ds_read_b64 v[10:11], v0
	s_waitcnt lgkmcnt(0)
	s_andn2_b64 s[38:39], s[38:39], exec
	v_cmp_ge_u64_e32 vcc, v[10:11], v[26:27]
	s_orn2_b64 vcc, vcc, exec
	s_branch .LBB4_671
.LBB4_676:                              ;   in Loop: Header=BB4_77 Depth=1
	s_or_b64 exec, exec, s[36:37]
	s_and_saveexec_b64 vcc, s[38:39]
	s_xor_b64 vcc, exec, vcc
	s_cbranch_execz .LBB4_678
; %bb.677:                              ;   in Loop: Header=BB4_77 Depth=1
	ds_write_b32 v0, v114
	s_trap 2
.LBB4_678:                              ;   in Loop: Header=BB4_77 Depth=1
	s_or_b64 exec, exec, s[34:35]
	;;#ASMSTART
	s_wakeup
	;;#ASMEND
.LBB4_679:                              ;   in Loop: Header=BB4_77 Depth=1
	s_or_b64 exec, exec, s[30:31]
.LBB4_680:                              ;   in Loop: Header=BB4_77 Depth=1
	s_andn2_saveexec_b64 s[94:95], s[94:95]
	s_cbranch_execz .LBB4_682
; %bb.681:                              ;   in Loop: Header=BB4_77 Depth=1
	s_waitcnt lgkmcnt(0)
	s_barrier
.LBB4_682:                              ;   in Loop: Header=BB4_77 Depth=1
	s_or_b64 exec, exec, s[94:95]
.LBB4_683:                              ;   in Loop: Header=BB4_77 Depth=1
	s_or_b64 exec, exec, s[28:29]
	s_trap 2
	ds_read_b32 v83, v0
	v_and_b32_e32 v2, 0x4000, v112
	v_cmp_ne_u32_e32 vcc, 0, v2
	s_xor_b64 s[28:29], s[6:7], -1
	s_and_b64 s[94:95], s[28:29], vcc
	s_and_saveexec_b64 s[28:29], s[94:95]
	s_cbranch_execz .LBB4_755
; %bb.684:                              ;   in Loop: Header=BB4_77 Depth=1
	s_and_saveexec_b64 s[94:95], s[60:61]
	s_xor_b64 s[94:95], exec, s[94:95]
	s_cbranch_execz .LBB4_752
; %bb.685:                              ;   in Loop: Header=BB4_77 Depth=1
	s_and_saveexec_b64 s[30:31], s[16:17]
	s_cbranch_execz .LBB4_751
; %bb.686:                              ;   in Loop: Header=BB4_77 Depth=1
	s_mov_b64 s[36:37], exec
	v_mbcnt_lo_u32_b32 v2, s36, 0
	v_mbcnt_hi_u32_b32 v2, s37, v2
	v_cmp_eq_u32_e32 vcc, 0, v2
	s_waitcnt lgkmcnt(0)
	s_and_saveexec_b64 s[34:35], vcc
	s_cbranch_execz .LBB4_688
; %bb.687:                              ;   in Loop: Header=BB4_77 Depth=1
	s_bcnt1_i32_b64 vcc_lo, s[36:37]
	v_mov_b32_e32 v2, vcc_lo
	ds_add_u64 v0, v[2:3]
	s_trap 2
.LBB4_688:                              ;   in Loop: Header=BB4_77 Depth=1
	s_or_b64 exec, exec, s[34:35]
	s_trap 2
	ds_read_b64 v[10:11], v0
	s_waitcnt lgkmcnt(0)
	v_lshl_add_u64 v[26:27], v[26:27], 0, v[34:35]
	v_cmp_lt_u64_e32 vcc, v[10:11], v[26:27]
	s_and_saveexec_b64 s[34:35], vcc
	s_cbranch_execz .LBB4_750
; %bb.689:                              ;   in Loop: Header=BB4_77 Depth=1
	s_mov_b32 s54, 0
	s_mov_b64 s[36:37], 0
                                        ; implicit-def: $sgpr38_sgpr39
                                        ; implicit-def: $sgpr48_sgpr49
	s_branch .LBB4_691
.LBB4_690:                              ;   in Loop: Header=BB4_691 Depth=2
	s_or_b64 exec, exec, s[52:53]
	s_and_b64 vcc, exec, vcc
	s_or_b64 s[36:37], vcc, s[36:37]
	s_andn2_b64 vcc, s[38:39], exec
	s_and_b64 s[38:39], s[48:49], exec
	s_or_b64 s[38:39], vcc, s[38:39]
	s_andn2_b64 exec, exec, s[36:37]
	s_cbranch_execz .LBB4_748
.LBB4_691:                              ;   Parent Loop BB4_77 Depth=1
                                        ; =>  This Inner Loop Header: Depth=2
	s_add_i32 s54, s54, 1
	s_cmpk_lg_i32 s54, 0x2710
	s_cselect_b64 s[50:51], -1, 0
	s_and_b64 vcc, exec, s[50:51]
	s_cbranch_vccz .LBB4_693
; %bb.692:                              ;   in Loop: Header=BB4_691 Depth=2
	s_mov_b64 vcc, -1
	s_or_b64 s[48:49], s[48:49], exec
	s_and_saveexec_b64 s[52:53], s[50:51]
	s_cbranch_execz .LBB4_690
	s_branch .LBB4_694
.LBB4_693:                              ;   in Loop: Header=BB4_691 Depth=2
	s_trap 2
	ds_read_b64 v[10:11], v0
	s_andn2_b64 s[50:51], s[50:51], exec
	s_mov_b32 s54, 0
	s_waitcnt vmcnt(0) lgkmcnt(0)
	flat_load_dword v2, v[10:11] sc0 sc1
	s_waitcnt vmcnt(0) lgkmcnt(0)
	buffer_inv sc0 sc1
	v_cmp_eq_u32_e32 vcc, 0, v2
	s_and_b64 vcc, vcc, exec
	s_or_b64 s[50:51], s[50:51], vcc
	s_mov_b64 vcc, -1
	s_or_b64 s[48:49], s[48:49], exec
	s_and_saveexec_b64 s[52:53], s[50:51]
	s_cbranch_execz .LBB4_690
.LBB4_694:                              ;   in Loop: Header=BB4_691 Depth=2
	s_sleep 1
	s_trap 2
	ds_read_b64 v[10:11], v0
	s_waitcnt lgkmcnt(0)
	s_andn2_b64 s[48:49], s[48:49], exec
	v_cmp_ge_u64_e32 vcc, v[10:11], v[26:27]
	s_orn2_b64 vcc, vcc, exec
	s_branch .LBB4_690
.LBB4_695:                              ;   in Loop: Header=BB4_77 Depth=1
	s_or_b64 exec, exec, s[34:35]
	s_and_saveexec_b64 vcc, s[36:37]
	s_xor_b64 vcc, exec, vcc
	s_cbranch_execz .LBB4_697
; %bb.696:                              ;   in Loop: Header=BB4_77 Depth=1
	ds_write_b32 v0, v114
	s_trap 2
.LBB4_697:                              ;   in Loop: Header=BB4_77 Depth=1
	s_or_b64 exec, exec, s[30:31]
	;;#ASMSTART
	s_wakeup
	;;#ASMEND
.LBB4_698:                              ;   in Loop: Header=BB4_77 Depth=1
	s_or_b64 exec, exec, s[94:95]
.LBB4_699:                              ;   in Loop: Header=BB4_77 Depth=1
	s_andn2_saveexec_b64 s[92:93], s[92:93]
	s_cbranch_execz .LBB4_701
; %bb.700:                              ;   in Loop: Header=BB4_77 Depth=1
	s_waitcnt lgkmcnt(0)
	s_barrier
.LBB4_701:                              ;   in Loop: Header=BB4_77 Depth=1
	s_or_b64 exec, exec, s[92:93]
.LBB4_702:                              ;   in Loop: Header=BB4_77 Depth=1
	s_or_b64 exec, exec, s[40:41]
	s_trap 2
	ds_read_b64 v[10:11], v0
	v_min_i32_e32 v82, v82, v41
	s_waitcnt lgkmcnt(0)
	v_cmp_eq_u64_e32 vcc, 0, v[10:11]
	s_cbranch_vccnz .LBB4_736
; %bb.703:                              ;   in Loop: Header=BB4_77 Depth=1
	s_trap 2
	ds_read_b64 v[12:13], v0
	s_waitcnt lgkmcnt(0)
	v_cmp_eq_u64_e32 vcc, 0, v[12:13]
	s_cbranch_vccnz .LBB4_736
; %bb.704:                              ;   in Loop: Header=BB4_77 Depth=1
	s_mov_b64 s[40:41], -1
	s_and_saveexec_b64 s[92:93], s[18:19]
	s_cbranch_execz .LBB4_706
; %bb.705:                              ;   in Loop: Header=BB4_77 Depth=1
	ds_read_b32 v2, v0 offset:720
	s_waitcnt lgkmcnt(0)
	v_and_b32_e32 v2, 15, v2
	v_cmp_eq_u32_e32 vcc, 0, v2
	s_orn2_b64 s[40:41], vcc, exec
.LBB4_706:                              ;   in Loop: Header=BB4_77 Depth=1
	s_or_b64 exec, exec, s[92:93]
	s_and_saveexec_b64 s[92:93], s[22:23]
	s_cbranch_execz .LBB4_708
; %bb.707:                              ;   in Loop: Header=BB4_77 Depth=1
	ds_read_b32 v2, v0 offset:784
	s_waitcnt lgkmcnt(0)
	v_and_b32_e32 v2, 15, v2
	v_cmp_eq_u32_e32 vcc, 0, v2
	s_and_b64 s[94:95], s[40:41], vcc
	s_andn2_b64 s[40:41], s[40:41], exec
	s_and_b64 s[94:95], s[94:95], exec
	s_or_b64 s[40:41], s[40:41], s[94:95]
.LBB4_708:                              ;   in Loop: Header=BB4_77 Depth=1
	s_or_b64 exec, exec, s[92:93]
	v_cmp_eq_u32_e32 vcc, 0, v83
	s_xor_b64 s[40:41], s[40:41], -1
	v_cndmask_b32_e64 v83, 0, 1, s[40:41]
	v_cndmask_b32_e32 v2, 0, v82, vcc
	s_mov_b64 s[94:95], -1
	v_cmp_ne_u32_e32 vcc, 0, v83
	v_mov_b32_e32 v83, 0
	v_mov_b32_e32 v86, v2
	;; [unrolled: 1-line block ×4, first 2 shown]
	s_cbranch_vccnz .LBB4_722
; %bb.709:                              ;   in Loop: Header=BB4_77 Depth=1
	v_ashrrev_i32_e32 v83, 31, v2
	v_lshrrev_b32_e32 v83, 21, v83
	v_add_u32_e32 v83, v2, v83
	v_ashrrev_i32_e32 v83, 11, v83
	v_sub_u32_e32 v97, v83, v118
	v_cmp_lt_i32_e32 vcc, 0, v97
	s_and_saveexec_b64 s[40:41], vcc
	s_cbranch_execz .LBB4_713
; %bb.710:                              ;   in Loop: Header=BB4_77 Depth=1
	s_mov_b64 s[92:93], 0
	v_mov_b64_e32 v[84:85], v[80:81]
.LBB4_711:                              ;   Parent Loop BB4_77 Depth=1
                                        ; =>  This Inner Loop Header: Depth=2
	v_lshl_add_u64 v[86:87], v[10:11], 0, v[84:85]
	global_load_dwordx4 v[98:101], v[86:87], off nt
	global_load_dwordx4 v[42:45], v[86:87], off offset:1024 nt
	v_sub_u32_e32 v97, v97, v34
	v_cmp_gt_i32_e32 vcc, 1, v97
	v_lshl_add_u64 v[86:87], v[12:13], 0, v[84:85]
	v_lshl_add_u64 v[84:85], v[84:85], 0, v[54:55]
	s_or_b64 s[92:93], vcc, s[92:93]
	s_waitcnt vmcnt(0)
	global_store_dwordx4 v[86:87], v[98:101], off
	global_store_dwordx4 v[86:87], v[42:45], off offset:1024
	s_andn2_b64 exec, exec, s[92:93]
	s_cbranch_execnz .LBB4_711
; %bb.712:                              ;   in Loop: Header=BB4_77 Depth=1
	s_or_b64 exec, exec, s[92:93]
.LBB4_713:                              ;   in Loop: Header=BB4_77 Depth=1
	s_or_b64 exec, exec, s[40:41]
	v_lshlrev_b32_e32 v96, 11, v83
	v_cmp_ne_u32_e32 vcc, v2, v96
	s_mov_b64 s[94:95], 0
	v_mov_b32_e32 v83, 0
                                        ; implicit-def: $vgpr86
                                        ; implicit-def: $vgpr87
                                        ; implicit-def: $vgpr84
	s_and_saveexec_b64 s[92:93], vcc
	s_cbranch_execz .LBB4_721
; %bb.714:                              ;   in Loop: Header=BB4_77 Depth=1
	v_lshlrev_b32_e32 v83, 6, v97
	v_sub_u32_e32 v83, v119, v83
	v_sub_u32_e32 v85, v2, v96
	v_ashrrev_i32_e32 v84, 31, v83
	v_lshrrev_b32_e32 v84, 26, v84
	v_ashrrev_i32_e32 v87, 31, v85
	v_add_u32_e32 v84, v83, v84
	v_lshrrev_b32_e32 v87, 22, v87
	v_ashrrev_i32_e32 v86, 6, v84
	v_and_b32_e32 v84, 0xffffffc0, v84
	v_add_u32_e32 v87, v85, v87
	v_sub_u32_e32 v97, v83, v84
	v_and_b32_e32 v98, 0xfffffc00, v87
	v_lshlrev_b32_e32 v83, 4, v97
	v_sub_u32_e32 v100, v85, v98
	v_lshl_add_u32 v84, v86, 10, v83
	v_ashrrev_i32_e32 v99, 10, v87
	v_cmp_lt_i32_e32 vcc, 15, v100
	v_sub_u32_e32 v83, v85, v84
	s_nop 0
	v_addc_co_u32_e64 v85, s[40:41], 0, v99, vcc
	v_sub_u32_e32 v99, v85, v86
	v_cmp_lt_i32_e64 s[40:41], 15, v83
	s_and_saveexec_b64 s[94:95], s[40:41]
	s_cbranch_execz .LBB4_718
; %bb.715:                              ;   in Loop: Header=BB4_77 Depth=1
	v_add_u32_e32 v84, v84, v96
	v_ashrrev_i32_e32 v85, 31, v84
	s_mov_b64 s[30:31], 0
.LBB4_716:                              ;   Parent Loop BB4_77 Depth=1
                                        ; =>  This Inner Loop Header: Depth=2
	v_lshl_add_u64 v[86:87], v[10:11], 0, v[84:85]
	global_load_dwordx4 v[42:45], v[86:87], off nt
	v_sub_u32_e32 v83, v83, v117
	v_cmp_gt_i32_e64 s[40:41], 16, v83
	v_lshl_add_u64 v[86:87], v[12:13], 0, v[84:85]
	v_sub_u32_e32 v99, v99, v34
	v_lshl_add_u64 v[84:85], v[84:85], 0, v[70:71]
	s_or_b64 s[30:31], s[40:41], s[30:31]
	s_waitcnt vmcnt(0)
	global_store_dwordx4 v[86:87], v[42:45], off
	s_andn2_b64 exec, exec, s[30:31]
	s_cbranch_execnz .LBB4_716
; %bb.717:                              ;   in Loop: Header=BB4_77 Depth=1
	s_or_b64 exec, exec, s[30:31]
.LBB4_718:                              ;   in Loop: Header=BB4_77 Depth=1
	s_or_b64 exec, exec, s[94:95]
	v_and_b32_e32 v85, 15, v2
	v_cndmask_b32_e32 v86, v100, v85, vcc
	v_mov_b32_e32 v83, 0
	v_cmp_ne_u32_e64 s[40:41], 0, v86
	s_mov_b64 s[94:95], 0
                                        ; implicit-def: $vgpr87
                                        ; implicit-def: $vgpr84
	s_and_saveexec_b64 s[30:31], s[40:41]
	s_cbranch_execz .LBB4_720
; %bb.719:                              ;   in Loop: Header=BB4_77 Depth=1
	v_sub_u32_e32 v83, v100, v85
	v_cndmask_b32_e32 v83, 0, v83, vcc
	v_cmp_lt_i32_e32 vcc, 0, v99
	s_mov_b64 s[94:95], exec
	v_add3_u32 v83, v98, v96, v83
	v_cndmask_b32_e32 v84, 0, v34, vcc
	v_sub_u32_e32 v84, v84, v99
	v_lshl_add_u32 v87, v84, 6, v97
	v_ashrrev_i32_e32 v84, 31, v87
	v_lshrrev_b32_e32 v84, 26, v84
	v_add_u32_e32 v84, v87, v84
	v_ashrrev_i32_e32 v84, 6, v84
.LBB4_720:                              ;   in Loop: Header=BB4_77 Depth=1
	s_or_b64 exec, exec, s[30:31]
	s_and_b64 s[94:95], s[94:95], exec
.LBB4_721:                              ;   in Loop: Header=BB4_77 Depth=1
	s_or_b64 exec, exec, s[92:93]
.LBB4_722:                              ;   in Loop: Header=BB4_77 Depth=1
	s_and_saveexec_b64 s[40:41], s[94:95]
	s_cbranch_execz .LBB4_731
; %bb.723:                              ;   in Loop: Header=BB4_77 Depth=1
	v_ashrrev_i32_e32 v85, 31, v86
	v_lshrrev_b32_e32 v85, 23, v85
	v_add_u32_e32 v85, v86, v85
	v_ashrrev_i32_e32 v98, 9, v85
	v_sub_u32_e32 v96, v98, v84
	v_ashrrev_i32_e32 v85, 31, v87
	v_cmp_lt_i32_e32 vcc, 0, v96
	v_lshrrev_b32_e32 v97, 26, v85
	s_and_saveexec_b64 s[92:93], vcc
	s_cbranch_execz .LBB4_727
; %bb.724:                              ;   in Loop: Header=BB4_77 Depth=1
	v_add_u32_e32 v85, v87, v97
	v_and_b32_e32 v85, 0xffffffc0, v85
	v_sub_u32_e32 v85, v87, v85
	v_lshlrev_b32_e32 v84, 9, v84
	v_add3_u32 v84, v83, v85, v84
	v_ashrrev_i32_e32 v85, 31, v84
	s_mov_b64 s[94:95], 0
.LBB4_725:                              ;   Parent Loop BB4_77 Depth=1
                                        ; =>  This Inner Loop Header: Depth=2
	v_lshl_add_u64 v[100:101], v[84:85], 0, v[10:11]
	flat_load_ubyte v99, v[100:101] nt
	flat_load_ubyte v102, v[100:101] offset:64 nt
	flat_load_ubyte v103, v[100:101] offset:128 nt
	;; [unrolled: 1-line block ×7, first 2 shown]
	v_sub_u32_e32 v96, v96, v34
	v_cmp_gt_i32_e32 vcc, 1, v96
	v_lshl_add_u64 v[100:101], v[84:85], 0, v[12:13]
	v_lshl_add_u64 v[10:11], v[10:11], 0, v[50:51]
	v_lshl_add_u64 v[12:13], v[12:13], 0, v[50:51]
	s_or_b64 s[94:95], vcc, s[94:95]
	s_waitcnt vmcnt(0) lgkmcnt(0)
	flat_store_byte v[100:101], v99 nt
	flat_store_byte v[100:101], v102 offset:64 nt
	flat_store_byte v[100:101], v103 offset:128 nt
	;; [unrolled: 1-line block ×7, first 2 shown]
	s_andn2_b64 exec, exec, s[94:95]
	s_cbranch_execnz .LBB4_725
; %bb.726:                              ;   in Loop: Header=BB4_77 Depth=1
	s_or_b64 exec, exec, s[94:95]
.LBB4_727:                              ;   in Loop: Header=BB4_77 Depth=1
	s_or_b64 exec, exec, s[92:93]
	v_lshlrev_b32_e32 v10, 9, v98
	v_cmp_ne_u32_e32 vcc, v86, v10
	s_and_b64 exec, exec, vcc
	s_cbranch_execz .LBB4_731
; %bb.728:                              ;   in Loop: Header=BB4_77 Depth=1
	v_add_u32_e32 v11, v87, v97
	v_and_b32_e32 v11, 0xffffffc0, v11
	v_sub_u32_e32 v11, v87, v11
	v_lshlrev_b32_e32 v12, 6, v96
	v_sub_u32_e32 v11, v11, v12
	v_add_u32_e32 v12, v10, v11
	v_sub_u32_e32 v84, v86, v12
	v_cmp_lt_i32_e32 vcc, 0, v84
	s_and_b64 exec, exec, vcc
	s_cbranch_execz .LBB4_731
; %bb.729:                              ;   in Loop: Header=BB4_77 Depth=1
	s_trap 2
	ds_read_b64 v[10:11], v0
	v_add_u32_e32 v12, v12, v83
	v_ashrrev_i32_e32 v13, 31, v12
	s_mov_b64 s[92:93], 0
.LBB4_730:                              ;   Parent Loop BB4_77 Depth=1
                                        ; =>  This Inner Loop Header: Depth=2
	s_waitcnt lgkmcnt(0)
	v_lshl_add_u64 v[86:87], v[10:11], 0, v[12:13]
	flat_load_ubyte v83, v[86:87] nt
	v_sub_u32_e32 v84, v84, v113
	v_cmp_gt_i32_e32 vcc, 1, v84
	v_lshl_add_u64 v[12:13], v[12:13], 0, v[68:69]
	s_or_b64 s[92:93], vcc, s[92:93]
	s_waitcnt vmcnt(0) lgkmcnt(0)
	flat_store_byte v[86:87], v83 nt
	s_andn2_b64 exec, exec, s[92:93]
	s_cbranch_execnz .LBB4_730
.LBB4_731:                              ;   in Loop: Header=BB4_77 Depth=1
	s_or_b64 exec, exec, s[40:41]
	v_cmp_lt_i32_e64 s[40:41], 0, v2
	s_and_saveexec_b64 s[92:93], s[10:11]
	s_cbranch_execnz .LBB4_737
.LBB4_732:                              ;   in Loop: Header=BB4_77 Depth=1
	s_or_b64 exec, exec, s[92:93]
	s_and_saveexec_b64 s[92:93], s[24:25]
	s_xor_b64 s[92:93], exec, s[92:93]
	s_cbranch_execz .LBB4_804
.LBB4_733:                              ;   in Loop: Header=BB4_77 Depth=1
	v_and_b32_e32 v2, 16, v112
	v_cmp_ne_u32_e32 vcc, 0, v2
	s_and_b64 s[94:95], vcc, s[40:41]
	s_and_saveexec_b64 s[40:41], s[94:95]
	s_cbranch_execz .LBB4_735
; %bb.734:                              ;   in Loop: Header=BB4_77 Depth=1
	buffer_wbl2 sc1
	s_waitcnt vmcnt(0) lgkmcnt(0)
	buffer_inv sc1
.LBB4_735:                              ;   in Loop: Header=BB4_77 Depth=1
	s_or_b64 exec, exec, s[40:41]
	s_andn2_saveexec_b64 s[40:41], s[92:93]
	s_cbranch_execz .LBB4_847
	s_branch .LBB4_805
.LBB4_736:                              ;   in Loop: Header=BB4_77 Depth=1
	s_mov_b64 s[40:41], 0
	s_and_saveexec_b64 s[92:93], s[10:11]
	s_cbranch_execz .LBB4_732
.LBB4_737:                              ;   in Loop: Header=BB4_77 Depth=1
	s_and_saveexec_b64 s[94:95], s[60:61]
	s_xor_b64 s[94:95], exec, s[94:95]
	s_cbranch_execz .LBB4_801
; %bb.738:                              ;   in Loop: Header=BB4_77 Depth=1
	s_and_saveexec_b64 s[30:31], s[16:17]
	s_cbranch_execz .LBB4_800
; %bb.739:                              ;   in Loop: Header=BB4_77 Depth=1
	s_mov_b64 s[36:37], exec
	v_mbcnt_lo_u32_b32 v2, s36, 0
	v_mbcnt_hi_u32_b32 v2, s37, v2
	v_cmp_eq_u32_e32 vcc, 0, v2
	s_waitcnt lgkmcnt(0)
	s_and_saveexec_b64 s[34:35], vcc
	s_cbranch_execz .LBB4_741
; %bb.740:                              ;   in Loop: Header=BB4_77 Depth=1
	s_bcnt1_i32_b64 vcc_lo, s[36:37]
	v_mov_b32_e32 v2, vcc_lo
	ds_add_u64 v0, v[2:3]
	s_trap 2
.LBB4_741:                              ;   in Loop: Header=BB4_77 Depth=1
	s_or_b64 exec, exec, s[34:35]
	s_trap 2
	ds_read_b64 v[10:11], v0
	s_waitcnt lgkmcnt(0)
	v_lshl_add_u64 v[26:27], v[26:27], 0, v[34:35]
	v_cmp_lt_u64_e32 vcc, v[10:11], v[26:27]
	s_and_saveexec_b64 s[34:35], vcc
	s_cbranch_execz .LBB4_799
; %bb.742:                              ;   in Loop: Header=BB4_77 Depth=1
	s_mov_b32 s54, 0
	s_mov_b64 s[36:37], 0
                                        ; implicit-def: $sgpr38_sgpr39
                                        ; implicit-def: $sgpr48_sgpr49
	s_branch .LBB4_744
.LBB4_743:                              ;   in Loop: Header=BB4_744 Depth=2
	s_or_b64 exec, exec, s[52:53]
	s_and_b64 vcc, exec, vcc
	s_or_b64 s[36:37], vcc, s[36:37]
	s_andn2_b64 vcc, s[38:39], exec
	s_and_b64 s[38:39], s[48:49], exec
	s_or_b64 s[38:39], vcc, s[38:39]
	s_andn2_b64 exec, exec, s[36:37]
	s_cbranch_execz .LBB4_797
.LBB4_744:                              ;   Parent Loop BB4_77 Depth=1
                                        ; =>  This Inner Loop Header: Depth=2
	s_add_i32 s54, s54, 1
	s_cmpk_lg_i32 s54, 0x2710
	s_cselect_b64 s[50:51], -1, 0
	s_and_b64 vcc, exec, s[50:51]
	s_cbranch_vccz .LBB4_746
; %bb.745:                              ;   in Loop: Header=BB4_744 Depth=2
	s_mov_b64 vcc, -1
	s_or_b64 s[48:49], s[48:49], exec
	s_and_saveexec_b64 s[52:53], s[50:51]
	s_cbranch_execz .LBB4_743
	s_branch .LBB4_747
.LBB4_746:                              ;   in Loop: Header=BB4_744 Depth=2
	s_trap 2
	ds_read_b64 v[10:11], v0
	s_andn2_b64 s[50:51], s[50:51], exec
	s_mov_b32 s54, 0
	s_waitcnt vmcnt(0) lgkmcnt(0)
	flat_load_dword v2, v[10:11] sc0 sc1
	s_waitcnt vmcnt(0) lgkmcnt(0)
	buffer_inv sc0 sc1
	v_cmp_eq_u32_e32 vcc, 0, v2
	s_and_b64 vcc, vcc, exec
	s_or_b64 s[50:51], s[50:51], vcc
	s_mov_b64 vcc, -1
	s_or_b64 s[48:49], s[48:49], exec
	s_and_saveexec_b64 s[52:53], s[50:51]
	s_cbranch_execz .LBB4_743
.LBB4_747:                              ;   in Loop: Header=BB4_744 Depth=2
	s_sleep 1
	s_trap 2
	ds_read_b64 v[10:11], v0
	s_waitcnt lgkmcnt(0)
	s_andn2_b64 s[48:49], s[48:49], exec
	v_cmp_ge_u64_e32 vcc, v[10:11], v[26:27]
	s_orn2_b64 vcc, vcc, exec
	s_branch .LBB4_743
.LBB4_748:                              ;   in Loop: Header=BB4_77 Depth=1
	s_or_b64 exec, exec, s[36:37]
	s_and_saveexec_b64 vcc, s[38:39]
	s_xor_b64 vcc, exec, vcc
	s_cbranch_execz .LBB4_750
; %bb.749:                              ;   in Loop: Header=BB4_77 Depth=1
	ds_write_b32 v0, v114
	s_trap 2
.LBB4_750:                              ;   in Loop: Header=BB4_77 Depth=1
	s_or_b64 exec, exec, s[34:35]
	;;#ASMSTART
	s_wakeup
	;;#ASMEND
.LBB4_751:                              ;   in Loop: Header=BB4_77 Depth=1
	s_or_b64 exec, exec, s[30:31]
.LBB4_752:                              ;   in Loop: Header=BB4_77 Depth=1
	s_andn2_saveexec_b64 s[94:95], s[94:95]
	s_cbranch_execz .LBB4_754
; %bb.753:                              ;   in Loop: Header=BB4_77 Depth=1
	s_waitcnt lgkmcnt(0)
	s_barrier
.LBB4_754:                              ;   in Loop: Header=BB4_77 Depth=1
	s_or_b64 exec, exec, s[94:95]
.LBB4_755:                              ;   in Loop: Header=BB4_77 Depth=1
	s_or_b64 exec, exec, s[28:29]
	s_trap 2
	ds_read_b64 v[10:11], v0
	s_waitcnt lgkmcnt(0)
	v_cmp_eq_u64_e32 vcc, 0, v[10:11]
	s_cbranch_vccnz .LBB4_785
; %bb.756:                              ;   in Loop: Header=BB4_77 Depth=1
	s_trap 2
	ds_read_b64 v[12:13], v0
	s_waitcnt lgkmcnt(0)
	v_cmp_eq_u64_e32 vcc, 0, v[12:13]
	s_cbranch_vccnz .LBB4_785
; %bb.757:                              ;   in Loop: Header=BB4_77 Depth=1
	s_mov_b64 s[28:29], -1
	s_and_saveexec_b64 s[94:95], s[22:23]
	s_cbranch_execz .LBB4_759
; %bb.758:                              ;   in Loop: Header=BB4_77 Depth=1
	ds_read_b32 v2, v0 offset:720
	s_waitcnt lgkmcnt(0)
	v_and_b32_e32 v2, 15, v2
	v_cmp_eq_u32_e32 vcc, 0, v2
	s_orn2_b64 s[28:29], vcc, exec
.LBB4_759:                              ;   in Loop: Header=BB4_77 Depth=1
	s_or_b64 exec, exec, s[94:95]
	s_and_saveexec_b64 s[94:95], s[18:19]
	s_cbranch_execz .LBB4_761
; %bb.760:                              ;   in Loop: Header=BB4_77 Depth=1
	ds_read_b32 v2, v0 offset:784
	s_waitcnt lgkmcnt(0)
	v_and_b32_e32 v2, 15, v2
	v_cmp_eq_u32_e32 vcc, 0, v2
	s_and_b64 vcc, s[28:29], vcc
	s_andn2_b64 s[28:29], s[28:29], exec
	s_and_b64 vcc, vcc, exec
	s_or_b64 s[28:29], s[28:29], vcc
.LBB4_761:                              ;   in Loop: Header=BB4_77 Depth=1
	s_or_b64 exec, exec, s[94:95]
	v_cmp_eq_u32_e32 vcc, 0, v83
	s_xor_b64 s[28:29], s[28:29], -1
	v_cndmask_b32_e64 v83, 0, 1, s[28:29]
	v_cndmask_b32_e32 v2, 0, v82, vcc
	s_mov_b64 s[30:31], -1
	v_cmp_ne_u32_e32 vcc, 0, v83
	v_mov_b32_e32 v83, 0
	v_mov_b32_e32 v86, v2
	;; [unrolled: 1-line block ×4, first 2 shown]
	s_cbranch_vccnz .LBB4_775
; %bb.762:                              ;   in Loop: Header=BB4_77 Depth=1
	v_ashrrev_i32_e32 v83, 31, v2
	v_lshrrev_b32_e32 v83, 21, v83
	v_add_u32_e32 v83, v2, v83
	v_ashrrev_i32_e32 v83, 11, v83
	v_sub_u32_e32 v97, v83, v118
	v_cmp_lt_i32_e32 vcc, 0, v97
	s_and_saveexec_b64 s[28:29], vcc
	s_cbranch_execz .LBB4_766
; %bb.763:                              ;   in Loop: Header=BB4_77 Depth=1
	s_mov_b64 s[94:95], 0
	v_mov_b64_e32 v[84:85], v[80:81]
.LBB4_764:                              ;   Parent Loop BB4_77 Depth=1
                                        ; =>  This Inner Loop Header: Depth=2
	v_lshl_add_u64 v[86:87], v[10:11], 0, v[84:85]
	global_load_dwordx4 v[98:101], v[86:87], off nt
	global_load_dwordx4 v[42:45], v[86:87], off offset:1024 nt
	v_sub_u32_e32 v97, v97, v34
	v_cmp_gt_i32_e32 vcc, 1, v97
	v_lshl_add_u64 v[86:87], v[12:13], 0, v[84:85]
	v_lshl_add_u64 v[84:85], v[84:85], 0, v[54:55]
	s_or_b64 s[94:95], vcc, s[94:95]
	s_waitcnt vmcnt(0)
	global_store_dwordx4 v[86:87], v[98:101], off
	global_store_dwordx4 v[86:87], v[42:45], off offset:1024
	s_andn2_b64 exec, exec, s[94:95]
	s_cbranch_execnz .LBB4_764
; %bb.765:                              ;   in Loop: Header=BB4_77 Depth=1
	s_or_b64 exec, exec, s[94:95]
.LBB4_766:                              ;   in Loop: Header=BB4_77 Depth=1
	s_or_b64 exec, exec, s[28:29]
	v_lshlrev_b32_e32 v96, 11, v83
	v_cmp_ne_u32_e32 vcc, v2, v96
	s_mov_b64 s[30:31], 0
	v_mov_b32_e32 v83, 0
                                        ; implicit-def: $vgpr86
                                        ; implicit-def: $vgpr87
                                        ; implicit-def: $vgpr84
	s_and_saveexec_b64 s[94:95], vcc
	s_cbranch_execz .LBB4_774
; %bb.767:                              ;   in Loop: Header=BB4_77 Depth=1
	v_lshlrev_b32_e32 v83, 6, v97
	v_sub_u32_e32 v83, v119, v83
	v_sub_u32_e32 v85, v2, v96
	v_ashrrev_i32_e32 v84, 31, v83
	v_lshrrev_b32_e32 v84, 26, v84
	v_ashrrev_i32_e32 v87, 31, v85
	v_add_u32_e32 v84, v83, v84
	v_lshrrev_b32_e32 v87, 22, v87
	v_ashrrev_i32_e32 v86, 6, v84
	v_and_b32_e32 v84, 0xffffffc0, v84
	v_add_u32_e32 v87, v85, v87
	v_sub_u32_e32 v97, v83, v84
	v_and_b32_e32 v98, 0xfffffc00, v87
	v_lshlrev_b32_e32 v83, 4, v97
	v_sub_u32_e32 v100, v85, v98
	v_lshl_add_u32 v84, v86, 10, v83
	v_ashrrev_i32_e32 v99, 10, v87
	v_cmp_lt_i32_e32 vcc, 15, v100
	v_sub_u32_e32 v83, v85, v84
	s_nop 0
	v_addc_co_u32_e64 v85, s[28:29], 0, v99, vcc
	v_sub_u32_e32 v99, v85, v86
	v_cmp_lt_i32_e64 s[28:29], 15, v83
	s_and_saveexec_b64 s[30:31], s[28:29]
	s_cbranch_execz .LBB4_771
; %bb.768:                              ;   in Loop: Header=BB4_77 Depth=1
	v_add_u32_e32 v84, v84, v96
	v_ashrrev_i32_e32 v85, 31, v84
	s_mov_b64 s[34:35], 0
.LBB4_769:                              ;   Parent Loop BB4_77 Depth=1
                                        ; =>  This Inner Loop Header: Depth=2
	v_lshl_add_u64 v[86:87], v[10:11], 0, v[84:85]
	global_load_dwordx4 v[42:45], v[86:87], off nt
	v_sub_u32_e32 v83, v83, v117
	v_cmp_gt_i32_e64 s[28:29], 16, v83
	v_lshl_add_u64 v[86:87], v[12:13], 0, v[84:85]
	v_sub_u32_e32 v99, v99, v34
	v_lshl_add_u64 v[84:85], v[84:85], 0, v[70:71]
	s_or_b64 s[34:35], s[28:29], s[34:35]
	s_waitcnt vmcnt(0)
	global_store_dwordx4 v[86:87], v[42:45], off
	s_andn2_b64 exec, exec, s[34:35]
	s_cbranch_execnz .LBB4_769
; %bb.770:                              ;   in Loop: Header=BB4_77 Depth=1
	s_or_b64 exec, exec, s[34:35]
.LBB4_771:                              ;   in Loop: Header=BB4_77 Depth=1
	s_or_b64 exec, exec, s[30:31]
	v_and_b32_e32 v85, 15, v2
	v_cndmask_b32_e32 v86, v100, v85, vcc
	v_mov_b32_e32 v83, 0
	v_cmp_ne_u32_e64 s[28:29], 0, v86
	s_mov_b64 s[30:31], 0
                                        ; implicit-def: $vgpr87
                                        ; implicit-def: $vgpr84
	s_and_saveexec_b64 s[34:35], s[28:29]
	s_cbranch_execz .LBB4_773
; %bb.772:                              ;   in Loop: Header=BB4_77 Depth=1
	v_sub_u32_e32 v83, v100, v85
	v_cndmask_b32_e32 v83, 0, v83, vcc
	v_cmp_lt_i32_e32 vcc, 0, v99
	s_mov_b64 s[30:31], exec
	v_add3_u32 v83, v98, v96, v83
	v_cndmask_b32_e32 v84, 0, v34, vcc
	v_sub_u32_e32 v84, v84, v99
	v_lshl_add_u32 v87, v84, 6, v97
	v_ashrrev_i32_e32 v84, 31, v87
	v_lshrrev_b32_e32 v84, 26, v84
	v_add_u32_e32 v84, v87, v84
	v_ashrrev_i32_e32 v84, 6, v84
.LBB4_773:                              ;   in Loop: Header=BB4_77 Depth=1
	s_or_b64 exec, exec, s[34:35]
	s_and_b64 s[30:31], s[30:31], exec
.LBB4_774:                              ;   in Loop: Header=BB4_77 Depth=1
	s_or_b64 exec, exec, s[94:95]
.LBB4_775:                              ;   in Loop: Header=BB4_77 Depth=1
	s_and_saveexec_b64 s[28:29], s[30:31]
	s_cbranch_execz .LBB4_784
; %bb.776:                              ;   in Loop: Header=BB4_77 Depth=1
	v_ashrrev_i32_e32 v85, 31, v86
	v_lshrrev_b32_e32 v85, 23, v85
	v_add_u32_e32 v85, v86, v85
	v_ashrrev_i32_e32 v98, 9, v85
	v_sub_u32_e32 v96, v98, v84
	v_ashrrev_i32_e32 v85, 31, v87
	v_cmp_lt_i32_e32 vcc, 0, v96
	v_lshrrev_b32_e32 v97, 26, v85
	s_and_saveexec_b64 s[94:95], vcc
	s_cbranch_execz .LBB4_780
; %bb.777:                              ;   in Loop: Header=BB4_77 Depth=1
	v_add_u32_e32 v85, v87, v97
	v_and_b32_e32 v85, 0xffffffc0, v85
	v_sub_u32_e32 v85, v87, v85
	v_lshlrev_b32_e32 v84, 9, v84
	v_add3_u32 v84, v83, v85, v84
	v_ashrrev_i32_e32 v85, 31, v84
	s_mov_b64 s[30:31], 0
.LBB4_778:                              ;   Parent Loop BB4_77 Depth=1
                                        ; =>  This Inner Loop Header: Depth=2
	v_lshl_add_u64 v[100:101], v[84:85], 0, v[10:11]
	flat_load_ubyte v99, v[100:101] nt
	flat_load_ubyte v102, v[100:101] offset:64 nt
	flat_load_ubyte v103, v[100:101] offset:128 nt
	;; [unrolled: 1-line block ×7, first 2 shown]
	v_sub_u32_e32 v96, v96, v34
	v_cmp_gt_i32_e32 vcc, 1, v96
	v_lshl_add_u64 v[100:101], v[84:85], 0, v[12:13]
	v_lshl_add_u64 v[10:11], v[10:11], 0, v[50:51]
	v_lshl_add_u64 v[12:13], v[12:13], 0, v[50:51]
	s_or_b64 s[30:31], vcc, s[30:31]
	s_waitcnt vmcnt(0) lgkmcnt(0)
	flat_store_byte v[100:101], v99 nt
	flat_store_byte v[100:101], v102 offset:64 nt
	flat_store_byte v[100:101], v103 offset:128 nt
	;; [unrolled: 1-line block ×7, first 2 shown]
	s_andn2_b64 exec, exec, s[30:31]
	s_cbranch_execnz .LBB4_778
; %bb.779:                              ;   in Loop: Header=BB4_77 Depth=1
	s_or_b64 exec, exec, s[30:31]
.LBB4_780:                              ;   in Loop: Header=BB4_77 Depth=1
	s_or_b64 exec, exec, s[94:95]
	v_lshlrev_b32_e32 v10, 9, v98
	v_cmp_ne_u32_e32 vcc, v86, v10
	s_and_b64 exec, exec, vcc
	s_cbranch_execz .LBB4_784
; %bb.781:                              ;   in Loop: Header=BB4_77 Depth=1
	v_add_u32_e32 v11, v87, v97
	v_and_b32_e32 v11, 0xffffffc0, v11
	v_sub_u32_e32 v11, v87, v11
	v_lshlrev_b32_e32 v12, 6, v96
	v_sub_u32_e32 v11, v11, v12
	v_add_u32_e32 v12, v10, v11
	v_sub_u32_e32 v84, v86, v12
	v_cmp_lt_i32_e32 vcc, 0, v84
	s_and_b64 exec, exec, vcc
	s_cbranch_execz .LBB4_784
; %bb.782:                              ;   in Loop: Header=BB4_77 Depth=1
	s_trap 2
	ds_read_b64 v[10:11], v0
	v_add_u32_e32 v12, v12, v83
	v_ashrrev_i32_e32 v13, 31, v12
	s_mov_b64 s[94:95], 0
.LBB4_783:                              ;   Parent Loop BB4_77 Depth=1
                                        ; =>  This Inner Loop Header: Depth=2
	s_waitcnt lgkmcnt(0)
	v_lshl_add_u64 v[86:87], v[10:11], 0, v[12:13]
	flat_load_ubyte v83, v[86:87] nt
	v_sub_u32_e32 v84, v84, v113
	v_cmp_gt_i32_e32 vcc, 1, v84
	v_lshl_add_u64 v[12:13], v[12:13], 0, v[68:69]
	s_or_b64 s[94:95], vcc, s[94:95]
	s_waitcnt vmcnt(0) lgkmcnt(0)
	flat_store_byte v[86:87], v83 nt
	s_andn2_b64 exec, exec, s[94:95]
	s_cbranch_execnz .LBB4_783
.LBB4_784:                              ;   in Loop: Header=BB4_77 Depth=1
	s_or_b64 exec, exec, s[28:29]
	v_cmp_lt_i32_e64 s[28:29], 0, v2
	s_and_saveexec_b64 s[94:95], s[10:11]
	s_cbranch_execnz .LBB4_786
	s_branch .LBB4_823
.LBB4_785:                              ;   in Loop: Header=BB4_77 Depth=1
	s_mov_b64 s[28:29], 0
	s_and_saveexec_b64 s[94:95], s[10:11]
	s_cbranch_execz .LBB4_823
.LBB4_786:                              ;   in Loop: Header=BB4_77 Depth=1
	s_and_saveexec_b64 vcc, s[60:61]
	s_xor_b64 s[30:31], exec, vcc
	s_cbranch_execz .LBB4_820
; %bb.787:                              ;   in Loop: Header=BB4_77 Depth=1
	s_and_saveexec_b64 s[34:35], s[16:17]
	s_cbranch_execz .LBB4_819
; %bb.788:                              ;   in Loop: Header=BB4_77 Depth=1
	s_mov_b64 s[38:39], exec
	v_mbcnt_lo_u32_b32 v2, s38, 0
	v_mbcnt_hi_u32_b32 v2, s39, v2
	v_cmp_eq_u32_e32 vcc, 0, v2
	s_waitcnt lgkmcnt(0)
	s_and_saveexec_b64 s[36:37], vcc
	s_cbranch_execz .LBB4_790
; %bb.789:                              ;   in Loop: Header=BB4_77 Depth=1
	s_bcnt1_i32_b64 vcc_lo, s[38:39]
	v_mov_b32_e32 v2, vcc_lo
	ds_add_u64 v0, v[2:3]
	s_trap 2
.LBB4_790:                              ;   in Loop: Header=BB4_77 Depth=1
	s_or_b64 exec, exec, s[36:37]
	s_trap 2
	ds_read_b64 v[10:11], v0
	s_waitcnt lgkmcnt(0)
	v_lshl_add_u64 v[26:27], v[26:27], 0, v[34:35]
	v_cmp_lt_u64_e32 vcc, v[10:11], v[26:27]
	s_and_saveexec_b64 s[36:37], vcc
	s_cbranch_execz .LBB4_818
; %bb.791:                              ;   in Loop: Header=BB4_77 Depth=1
	s_mov_b32 s64, 0
	s_mov_b64 s[38:39], 0
                                        ; implicit-def: $sgpr48_sgpr49
                                        ; implicit-def: $sgpr50_sgpr51
	s_branch .LBB4_793
.LBB4_792:                              ;   in Loop: Header=BB4_793 Depth=2
	s_or_b64 exec, exec, s[54:55]
	s_and_b64 vcc, exec, vcc
	s_or_b64 s[38:39], vcc, s[38:39]
	s_andn2_b64 vcc, s[48:49], exec
	s_and_b64 s[48:49], s[50:51], exec
	s_or_b64 s[48:49], vcc, s[48:49]
	s_andn2_b64 exec, exec, s[38:39]
	s_cbranch_execz .LBB4_816
.LBB4_793:                              ;   Parent Loop BB4_77 Depth=1
                                        ; =>  This Inner Loop Header: Depth=2
	s_add_i32 s64, s64, 1
	s_cmpk_lg_i32 s64, 0x2710
	s_cselect_b64 s[52:53], -1, 0
	s_and_b64 vcc, exec, s[52:53]
	s_cbranch_vccz .LBB4_795
; %bb.794:                              ;   in Loop: Header=BB4_793 Depth=2
	s_mov_b64 vcc, -1
	s_or_b64 s[50:51], s[50:51], exec
	s_and_saveexec_b64 s[54:55], s[52:53]
	s_cbranch_execz .LBB4_792
	s_branch .LBB4_796
.LBB4_795:                              ;   in Loop: Header=BB4_793 Depth=2
	s_trap 2
	ds_read_b64 v[10:11], v0
	s_andn2_b64 s[52:53], s[52:53], exec
	s_mov_b32 s64, 0
	s_waitcnt vmcnt(0) lgkmcnt(0)
	flat_load_dword v2, v[10:11] sc0 sc1
	s_waitcnt vmcnt(0) lgkmcnt(0)
	buffer_inv sc0 sc1
	v_cmp_eq_u32_e32 vcc, 0, v2
	s_and_b64 vcc, vcc, exec
	s_or_b64 s[52:53], s[52:53], vcc
	s_mov_b64 vcc, -1
	s_or_b64 s[50:51], s[50:51], exec
	s_and_saveexec_b64 s[54:55], s[52:53]
	s_cbranch_execz .LBB4_792
.LBB4_796:                              ;   in Loop: Header=BB4_793 Depth=2
	s_sleep 1
	s_trap 2
	ds_read_b64 v[10:11], v0
	s_waitcnt lgkmcnt(0)
	s_andn2_b64 s[50:51], s[50:51], exec
	v_cmp_ge_u64_e32 vcc, v[10:11], v[26:27]
	s_orn2_b64 vcc, vcc, exec
	s_branch .LBB4_792
.LBB4_797:                              ;   in Loop: Header=BB4_77 Depth=1
	s_or_b64 exec, exec, s[36:37]
	s_and_saveexec_b64 vcc, s[38:39]
	s_xor_b64 vcc, exec, vcc
	s_cbranch_execz .LBB4_799
; %bb.798:                              ;   in Loop: Header=BB4_77 Depth=1
	ds_write_b32 v0, v114
	s_trap 2
.LBB4_799:                              ;   in Loop: Header=BB4_77 Depth=1
	s_or_b64 exec, exec, s[34:35]
	;;#ASMSTART
	s_wakeup
	;;#ASMEND
.LBB4_800:                              ;   in Loop: Header=BB4_77 Depth=1
	s_or_b64 exec, exec, s[30:31]
.LBB4_801:                              ;   in Loop: Header=BB4_77 Depth=1
	s_andn2_saveexec_b64 s[94:95], s[94:95]
	s_cbranch_execz .LBB4_803
; %bb.802:                              ;   in Loop: Header=BB4_77 Depth=1
	s_waitcnt lgkmcnt(0)
	s_barrier
.LBB4_803:                              ;   in Loop: Header=BB4_77 Depth=1
	s_or_b64 exec, exec, s[94:95]
	s_or_b64 exec, exec, s[92:93]
	s_and_saveexec_b64 s[92:93], s[24:25]
	s_xor_b64 s[92:93], exec, s[92:93]
	s_cbranch_execnz .LBB4_733
.LBB4_804:                              ;   in Loop: Header=BB4_77 Depth=1
	s_andn2_saveexec_b64 s[40:41], s[92:93]
	s_cbranch_execz .LBB4_847
.LBB4_805:                              ;   in Loop: Header=BB4_77 Depth=1
	s_and_saveexec_b64 s[92:93], s[60:61]
	s_xor_b64 s[92:93], exec, s[92:93]
	s_cbranch_execz .LBB4_844
; %bb.806:                              ;   in Loop: Header=BB4_77 Depth=1
	s_and_saveexec_b64 s[94:95], s[16:17]
	s_cbranch_execz .LBB4_843
; %bb.807:                              ;   in Loop: Header=BB4_77 Depth=1
	s_mov_b64 s[34:35], exec
	v_mbcnt_lo_u32_b32 v2, s34, 0
	v_mbcnt_hi_u32_b32 v2, s35, v2
	v_cmp_eq_u32_e32 vcc, 0, v2
	;;#ASMSTART
	s_waitcnt lgkmcnt(0) vmcnt(0)
	;;#ASMEND
	s_and_saveexec_b64 s[30:31], vcc
	s_cbranch_execz .LBB4_809
; %bb.808:                              ;   in Loop: Header=BB4_77 Depth=1
	s_bcnt1_i32_b64 vcc_lo, s[34:35]
	v_mov_b32_e32 v2, vcc_lo
	s_waitcnt lgkmcnt(0)
	ds_add_u64 v0, v[2:3]
	s_trap 2
.LBB4_809:                              ;   in Loop: Header=BB4_77 Depth=1
	s_or_b64 exec, exec, s[30:31]
	s_trap 2
	ds_read_b64 v[10:11], v0
	s_waitcnt lgkmcnt(0)
	v_lshl_add_u64 v[26:27], v[26:27], 0, v[34:35]
	v_cmp_lt_u64_e32 vcc, v[10:11], v[26:27]
	s_and_saveexec_b64 s[30:31], vcc
	s_cbranch_execz .LBB4_842
; %bb.810:                              ;   in Loop: Header=BB4_77 Depth=1
	s_mov_b32 s52, 0
	s_mov_b64 s[34:35], 0
                                        ; implicit-def: $sgpr36_sgpr37
                                        ; implicit-def: $sgpr38_sgpr39
	s_branch .LBB4_812
.LBB4_811:                              ;   in Loop: Header=BB4_812 Depth=2
	s_or_b64 exec, exec, s[50:51]
	s_and_b64 vcc, exec, vcc
	s_or_b64 s[34:35], vcc, s[34:35]
	s_andn2_b64 vcc, s[36:37], exec
	s_and_b64 s[36:37], s[38:39], exec
	s_or_b64 s[36:37], vcc, s[36:37]
	s_andn2_b64 exec, exec, s[34:35]
	s_cbranch_execz .LBB4_840
.LBB4_812:                              ;   Parent Loop BB4_77 Depth=1
                                        ; =>  This Inner Loop Header: Depth=2
	s_add_i32 s52, s52, 1
	s_cmpk_lg_i32 s52, 0x2710
	s_cselect_b64 s[48:49], -1, 0
	s_and_b64 vcc, exec, s[48:49]
	s_cbranch_vccz .LBB4_814
; %bb.813:                              ;   in Loop: Header=BB4_812 Depth=2
	s_mov_b64 vcc, -1
	s_or_b64 s[38:39], s[38:39], exec
	s_and_saveexec_b64 s[50:51], s[48:49]
	s_cbranch_execz .LBB4_811
	s_branch .LBB4_815
.LBB4_814:                              ;   in Loop: Header=BB4_812 Depth=2
	s_trap 2
	ds_read_b64 v[10:11], v0
	s_andn2_b64 s[48:49], s[48:49], exec
	s_mov_b32 s52, 0
	s_waitcnt vmcnt(0) lgkmcnt(0)
	flat_load_dword v2, v[10:11] sc0 sc1
	s_waitcnt vmcnt(0) lgkmcnt(0)
	buffer_inv sc0 sc1
	v_cmp_eq_u32_e32 vcc, 0, v2
	s_and_b64 vcc, vcc, exec
	s_or_b64 s[48:49], s[48:49], vcc
	s_mov_b64 vcc, -1
	s_or_b64 s[38:39], s[38:39], exec
	s_and_saveexec_b64 s[50:51], s[48:49]
	s_cbranch_execz .LBB4_811
.LBB4_815:                              ;   in Loop: Header=BB4_812 Depth=2
	s_sleep 1
	s_trap 2
	ds_read_b64 v[10:11], v0
	s_waitcnt lgkmcnt(0)
	s_andn2_b64 s[38:39], s[38:39], exec
	v_cmp_ge_u64_e32 vcc, v[10:11], v[26:27]
	s_orn2_b64 vcc, vcc, exec
	s_branch .LBB4_811
.LBB4_816:                              ;   in Loop: Header=BB4_77 Depth=1
	s_or_b64 exec, exec, s[38:39]
	s_and_saveexec_b64 vcc, s[48:49]
	s_xor_b64 vcc, exec, vcc
	s_cbranch_execz .LBB4_818
; %bb.817:                              ;   in Loop: Header=BB4_77 Depth=1
	ds_write_b32 v0, v114
	s_trap 2
.LBB4_818:                              ;   in Loop: Header=BB4_77 Depth=1
	s_or_b64 exec, exec, s[36:37]
	;;#ASMSTART
	s_wakeup
	;;#ASMEND
.LBB4_819:                              ;   in Loop: Header=BB4_77 Depth=1
	s_or_b64 exec, exec, s[34:35]
.LBB4_820:                              ;   in Loop: Header=BB4_77 Depth=1
	s_andn2_saveexec_b64 vcc, s[30:31]
	s_cbranch_execz .LBB4_822
; %bb.821:                              ;   in Loop: Header=BB4_77 Depth=1
	s_waitcnt lgkmcnt(0)
	s_barrier
.LBB4_822:                              ;   in Loop: Header=BB4_77 Depth=1
	s_or_b64 exec, exec, vcc
.LBB4_823:                              ;   in Loop: Header=BB4_77 Depth=1
	s_or_b64 exec, exec, s[94:95]
	v_and_b32_e32 v10, 16, v112
	s_and_saveexec_b64 s[94:95], s[24:25]
	s_xor_b64 s[94:95], exec, s[94:95]
	s_cbranch_execz .LBB4_828
; %bb.824:                              ;   in Loop: Header=BB4_77 Depth=1
	v_and_b32_e32 v2, 16, v112
	v_cmp_ne_u32_e32 vcc, 0, v2
	v_and_b32_e32 v10, 16, v112
	s_and_b64 vcc, vcc, s[28:29]
	s_and_saveexec_b64 s[28:29], vcc
	s_cbranch_execz .LBB4_826
; %bb.825:                              ;   in Loop: Header=BB4_77 Depth=1
	v_mov_b32_e32 v10, 1
	buffer_wbl2 sc1
	s_waitcnt vmcnt(0) lgkmcnt(0)
	buffer_inv sc1
.LBB4_826:                              ;   in Loop: Header=BB4_77 Depth=1
	s_or_b64 exec, exec, s[28:29]
	s_andn2_saveexec_b64 s[28:29], s[94:95]
	s_cbranch_execnz .LBB4_829
.LBB4_827:                              ;   in Loop: Header=BB4_77 Depth=1
	s_or_b64 exec, exec, s[28:29]
	v_cmp_ne_u32_e32 vcc, 0, v10
	s_and_saveexec_b64 s[28:29], vcc
	s_cbranch_execnz .LBB4_896
	s_branch .LBB4_899
.LBB4_828:                              ;   in Loop: Header=BB4_77 Depth=1
	s_andn2_saveexec_b64 s[28:29], s[94:95]
	s_cbranch_execz .LBB4_827
.LBB4_829:                              ;   in Loop: Header=BB4_77 Depth=1
	s_and_saveexec_b64 s[94:95], s[60:61]
	s_xor_b64 s[94:95], exec, s[94:95]
	s_cbranch_execz .LBB4_893
; %bb.830:                              ;   in Loop: Header=BB4_77 Depth=1
	s_and_saveexec_b64 s[30:31], s[16:17]
	s_cbranch_execz .LBB4_892
; %bb.831:                              ;   in Loop: Header=BB4_77 Depth=1
	s_mov_b64 s[36:37], exec
	v_mbcnt_lo_u32_b32 v2, s36, 0
	v_mbcnt_hi_u32_b32 v2, s37, v2
	v_cmp_eq_u32_e32 vcc, 0, v2
	;;#ASMSTART
	s_waitcnt lgkmcnt(0) vmcnt(0)
	;;#ASMEND
	s_and_saveexec_b64 s[34:35], vcc
	s_cbranch_execz .LBB4_833
; %bb.832:                              ;   in Loop: Header=BB4_77 Depth=1
	s_bcnt1_i32_b64 vcc_lo, s[36:37]
	v_mov_b32_e32 v2, vcc_lo
	s_waitcnt lgkmcnt(0)
	ds_add_u64 v0, v[2:3]
	s_trap 2
.LBB4_833:                              ;   in Loop: Header=BB4_77 Depth=1
	s_or_b64 exec, exec, s[34:35]
	s_trap 2
	ds_read_b64 v[12:13], v0
	s_waitcnt lgkmcnt(0)
	v_lshl_add_u64 v[26:27], v[26:27], 0, v[34:35]
	v_cmp_lt_u64_e32 vcc, v[12:13], v[26:27]
	s_and_saveexec_b64 s[34:35], vcc
	s_cbranch_execz .LBB4_891
; %bb.834:                              ;   in Loop: Header=BB4_77 Depth=1
	s_mov_b32 s54, 0
	s_mov_b64 s[36:37], 0
                                        ; implicit-def: $sgpr38_sgpr39
                                        ; implicit-def: $sgpr48_sgpr49
	s_branch .LBB4_836
.LBB4_835:                              ;   in Loop: Header=BB4_836 Depth=2
	s_or_b64 exec, exec, s[52:53]
	s_and_b64 vcc, exec, vcc
	s_or_b64 s[36:37], vcc, s[36:37]
	s_andn2_b64 vcc, s[38:39], exec
	s_and_b64 s[38:39], s[48:49], exec
	s_or_b64 s[38:39], vcc, s[38:39]
	s_andn2_b64 exec, exec, s[36:37]
	s_cbranch_execz .LBB4_889
.LBB4_836:                              ;   Parent Loop BB4_77 Depth=1
                                        ; =>  This Inner Loop Header: Depth=2
	s_add_i32 s54, s54, 1
	s_cmpk_lg_i32 s54, 0x2710
	s_cselect_b64 s[50:51], -1, 0
	s_and_b64 vcc, exec, s[50:51]
	s_cbranch_vccz .LBB4_838
; %bb.837:                              ;   in Loop: Header=BB4_836 Depth=2
	s_mov_b64 vcc, -1
	s_or_b64 s[48:49], s[48:49], exec
	s_and_saveexec_b64 s[52:53], s[50:51]
	s_cbranch_execz .LBB4_835
	s_branch .LBB4_839
.LBB4_838:                              ;   in Loop: Header=BB4_836 Depth=2
	s_trap 2
	ds_read_b64 v[12:13], v0
	s_andn2_b64 s[50:51], s[50:51], exec
	s_mov_b32 s54, 0
	s_waitcnt vmcnt(0) lgkmcnt(0)
	flat_load_dword v2, v[12:13] sc0 sc1
	s_waitcnt vmcnt(0) lgkmcnt(0)
	buffer_inv sc0 sc1
	v_cmp_eq_u32_e32 vcc, 0, v2
	s_and_b64 vcc, vcc, exec
	s_or_b64 s[50:51], s[50:51], vcc
	s_mov_b64 vcc, -1
	s_or_b64 s[48:49], s[48:49], exec
	s_and_saveexec_b64 s[52:53], s[50:51]
	s_cbranch_execz .LBB4_835
.LBB4_839:                              ;   in Loop: Header=BB4_836 Depth=2
	s_sleep 1
	s_trap 2
	ds_read_b64 v[12:13], v0
	s_waitcnt lgkmcnt(0)
	s_andn2_b64 s[48:49], s[48:49], exec
	v_cmp_ge_u64_e32 vcc, v[12:13], v[26:27]
	s_orn2_b64 vcc, vcc, exec
	s_branch .LBB4_835
.LBB4_840:                              ;   in Loop: Header=BB4_77 Depth=1
	s_or_b64 exec, exec, s[34:35]
	s_and_saveexec_b64 vcc, s[36:37]
	s_xor_b64 vcc, exec, vcc
	s_cbranch_execz .LBB4_842
; %bb.841:                              ;   in Loop: Header=BB4_77 Depth=1
	ds_write_b32 v0, v114
	s_trap 2
.LBB4_842:                              ;   in Loop: Header=BB4_77 Depth=1
	s_or_b64 exec, exec, s[30:31]
	;;#ASMSTART
	s_wakeup
	;;#ASMEND
.LBB4_843:                              ;   in Loop: Header=BB4_77 Depth=1
	s_or_b64 exec, exec, s[94:95]
.LBB4_844:                              ;   in Loop: Header=BB4_77 Depth=1
	s_andn2_saveexec_b64 s[92:93], s[92:93]
	s_cbranch_execz .LBB4_846
; %bb.845:                              ;   in Loop: Header=BB4_77 Depth=1
	;;#ASMSTART
	s_waitcnt lgkmcnt(0) vmcnt(0)
	;;#ASMEND
	s_barrier
.LBB4_846:                              ;   in Loop: Header=BB4_77 Depth=1
	s_or_b64 exec, exec, s[92:93]
.LBB4_847:                              ;   in Loop: Header=BB4_77 Depth=1
	s_or_b64 exec, exec, s[40:41]
	v_and_b32_e32 v2, 32, v112
	v_cmp_ne_u32_e32 vcc, 0, v2
	s_and_saveexec_b64 s[40:41], vcc
	s_cbranch_execz .LBB4_849
; %bb.848:                              ;   in Loop: Header=BB4_77 Depth=1
	v_lshl_add_u64 v[8:9], v[8:9], 0, 1
	flat_store_dwordx2 v[20:21], v[8:9] sc0 sc1
.LBB4_849:                              ;   in Loop: Header=BB4_77 Depth=1
	s_or_b64 exec, exec, s[40:41]
	v_mov_b32_e32 v83, v82
.LBB4_850:                              ;   in Loop: Header=BB4_77 Depth=1
	s_or_b64 exec, exec, s[88:89]
	s_mov_b64 s[40:41], s[42:43]
	s_and_saveexec_b64 s[88:89], s[26:27]
	s_cbranch_execz .LBB4_999
; %bb.851:                              ;   in Loop: Header=BB4_77 Depth=1
	v_and_b32_e32 v2, 4, v112
	v_cmp_ne_u32_e32 vcc, 0, v2
	s_and_saveexec_b64 s[92:93], vcc
	s_cbranch_execz .LBB4_861
; %bb.852:                              ;   in Loop: Header=BB4_77 Depth=1
	v_lshl_add_u64 v[10:11], v[8:9], 0, 1
	s_waitcnt vmcnt(0) lgkmcnt(0)
	v_cmp_lt_u64_e32 vcc, v[32:33], v[10:11]
	s_and_saveexec_b64 s[94:95], vcc
	s_cbranch_execz .LBB4_876
; %bb.853:                              ;   in Loop: Header=BB4_77 Depth=1
	v_and_b32_e32 v2, 64, v112
	s_mov_b32 s66, 0
	v_cmp_eq_u32_e32 vcc, 0, v2
	s_mov_b64 s[30:31], 0
                                        ; implicit-def: $sgpr34_sgpr35
                                        ; implicit-def: $sgpr36_sgpr37
                                        ; implicit-def: $sgpr38_sgpr39
	s_branch .LBB4_857
.LBB4_854:                              ;   in Loop: Header=BB4_857 Depth=2
	s_waitcnt vmcnt(0) lgkmcnt(0)
	v_cmp_ge_u64_e64 s[40:41], v[32:33], v[10:11]
	s_or_b64 s[52:53], s[52:53], exec
	s_orn2_b64 s[50:51], s[40:41], exec
.LBB4_855:                              ;   in Loop: Header=BB4_857 Depth=2
	s_or_b64 exec, exec, s[64:65]
	s_andn2_b64 s[40:41], s[38:39], exec
	s_and_b64 s[38:39], s[52:53], exec
	s_or_b64 s[38:39], s[40:41], s[38:39]
	s_andn2_b64 s[40:41], s[36:37], exec
	s_and_b64 s[36:37], s[50:51], exec
	s_or_b64 s[36:37], s[40:41], s[36:37]
.LBB4_856:                              ;   in Loop: Header=BB4_857 Depth=2
	s_or_b64 exec, exec, s[48:49]
	s_and_b64 s[40:41], exec, s[36:37]
	s_or_b64 s[30:31], s[40:41], s[30:31]
	s_andn2_b64 s[40:41], s[34:35], exec
	s_and_b64 s[34:35], s[38:39], exec
	s_or_b64 s[34:35], s[40:41], s[34:35]
	s_andn2_b64 exec, exec, s[30:31]
	s_cbranch_execz .LBB4_873
.LBB4_857:                              ;   Parent Loop BB4_77 Depth=1
                                        ; =>  This Inner Loop Header: Depth=2
	s_sleep 1
	s_waitcnt vmcnt(0) lgkmcnt(0)
	flat_load_dwordx2 v[32:33], v[20:21] sc0 sc1
	s_or_b64 s[38:39], s[38:39], exec
	s_or_b64 s[36:37], s[36:37], exec
                                        ; implicit-def: $vgpr2
	s_and_saveexec_b64 s[48:49], vcc
	s_cbranch_execz .LBB4_856
; %bb.858:                              ;   in Loop: Header=BB4_857 Depth=2
	s_cmpk_lt_i32 s66, 0x270f
	s_cselect_b64 s[54:55], -1, 0
	s_cmpk_gt_i32 s66, 0x270e
	s_mov_b64 s[50:51], -1
	s_cbranch_scc0 .LBB4_860
; %bb.859:                              ;   in Loop: Header=BB4_857 Depth=2
	s_trap 2
	ds_read_b64 v[12:13], v0
	s_andn2_b64 s[54:55], s[54:55], exec
	s_mov_b32 s66, 0
	s_mov_b64 s[52:53], 0
	s_waitcnt vmcnt(0) lgkmcnt(0)
	flat_load_dword v2, v[12:13] sc0 sc1
	s_waitcnt vmcnt(0) lgkmcnt(0)
	buffer_inv sc0 sc1
	v_cmp_eq_u32_e64 s[40:41], 0, v2
	s_and_b64 s[40:41], s[40:41], exec
	s_or_b64 s[54:55], s[54:55], s[40:41]
	s_and_saveexec_b64 s[64:65], s[54:55]
	s_cbranch_execz .LBB4_855
	s_branch .LBB4_854
.LBB4_860:                              ;   in Loop: Header=BB4_857 Depth=2
	s_add_i32 s66, s66, 1
	s_mov_b64 s[52:53], -1
                                        ; implicit-def: $vgpr2
	s_and_saveexec_b64 s[64:65], s[54:55]
	s_cbranch_execz .LBB4_855
	s_branch .LBB4_854
.LBB4_861:                              ;   in Loop: Header=BB4_77 Depth=1
	s_or_b64 exec, exec, s[92:93]
	s_and_saveexec_b64 s[40:41], s[10:11]
	s_cbranch_execz .LBB4_885
.LBB4_862:                              ;   in Loop: Header=BB4_77 Depth=1
	s_and_saveexec_b64 s[92:93], s[60:61]
	s_xor_b64 s[92:93], exec, s[92:93]
	s_cbranch_execz .LBB4_951
; %bb.863:                              ;   in Loop: Header=BB4_77 Depth=1
	s_and_saveexec_b64 s[94:95], s[16:17]
	s_cbranch_execz .LBB4_950
; %bb.864:                              ;   in Loop: Header=BB4_77 Depth=1
	s_mov_b64 s[34:35], exec
	v_mbcnt_lo_u32_b32 v2, s34, 0
	v_mbcnt_hi_u32_b32 v2, s35, v2
	v_cmp_eq_u32_e32 vcc, 0, v2
	s_waitcnt lgkmcnt(0)
	s_and_saveexec_b64 s[30:31], vcc
	s_cbranch_execz .LBB4_866
; %bb.865:                              ;   in Loop: Header=BB4_77 Depth=1
	s_bcnt1_i32_b64 vcc_lo, s[34:35]
	v_mov_b32_e32 v2, vcc_lo
	ds_add_u64 v0, v[2:3]
	s_trap 2
.LBB4_866:                              ;   in Loop: Header=BB4_77 Depth=1
	s_or_b64 exec, exec, s[30:31]
	s_trap 2
	ds_read_b64 v[10:11], v0
	s_waitcnt lgkmcnt(0)
	v_lshl_add_u64 v[26:27], v[26:27], 0, v[34:35]
	v_cmp_lt_u64_e32 vcc, v[10:11], v[26:27]
	s_and_saveexec_b64 s[30:31], vcc
	s_cbranch_execz .LBB4_949
; %bb.867:                              ;   in Loop: Header=BB4_77 Depth=1
	s_mov_b32 s52, 0
	s_mov_b64 s[34:35], 0
                                        ; implicit-def: $sgpr36_sgpr37
                                        ; implicit-def: $sgpr38_sgpr39
	s_branch .LBB4_869
.LBB4_868:                              ;   in Loop: Header=BB4_869 Depth=2
	s_or_b64 exec, exec, s[50:51]
	s_and_b64 vcc, exec, vcc
	s_or_b64 s[34:35], vcc, s[34:35]
	s_andn2_b64 vcc, s[36:37], exec
	s_and_b64 s[36:37], s[38:39], exec
	s_or_b64 s[36:37], vcc, s[36:37]
	s_andn2_b64 exec, exec, s[34:35]
	s_cbranch_execz .LBB4_947
.LBB4_869:                              ;   Parent Loop BB4_77 Depth=1
                                        ; =>  This Inner Loop Header: Depth=2
	s_add_i32 s52, s52, 1
	s_cmpk_lg_i32 s52, 0x2710
	s_cselect_b64 s[48:49], -1, 0
	s_and_b64 vcc, exec, s[48:49]
	s_cbranch_vccz .LBB4_871
; %bb.870:                              ;   in Loop: Header=BB4_869 Depth=2
	s_mov_b64 vcc, -1
	s_or_b64 s[38:39], s[38:39], exec
	s_and_saveexec_b64 s[50:51], s[48:49]
	s_cbranch_execz .LBB4_868
	s_branch .LBB4_872
.LBB4_871:                              ;   in Loop: Header=BB4_869 Depth=2
	s_trap 2
	ds_read_b64 v[10:11], v0
	s_andn2_b64 s[48:49], s[48:49], exec
	s_mov_b32 s52, 0
	s_waitcnt vmcnt(0) lgkmcnt(0)
	flat_load_dword v2, v[10:11] sc0 sc1
	s_waitcnt vmcnt(0) lgkmcnt(0)
	buffer_inv sc0 sc1
	v_cmp_eq_u32_e32 vcc, 0, v2
	s_and_b64 vcc, vcc, exec
	s_or_b64 s[48:49], s[48:49], vcc
	s_mov_b64 vcc, -1
	s_or_b64 s[38:39], s[38:39], exec
	s_and_saveexec_b64 s[50:51], s[48:49]
	s_cbranch_execz .LBB4_868
.LBB4_872:                              ;   in Loop: Header=BB4_869 Depth=2
	s_sleep 1
	s_trap 2
	ds_read_b64 v[10:11], v0
	s_waitcnt lgkmcnt(0)
	s_andn2_b64 s[38:39], s[38:39], exec
	v_cmp_ge_u64_e32 vcc, v[10:11], v[26:27]
	s_orn2_b64 vcc, vcc, exec
	s_branch .LBB4_868
.LBB4_873:                              ;   in Loop: Header=BB4_77 Depth=1
	s_or_b64 exec, exec, s[30:31]
	s_xor_b64 s[40:41], s[34:35], -1
	s_and_saveexec_b64 vcc, s[40:41]
	s_xor_b64 s[40:41], exec, vcc
	s_cbranch_execz .LBB4_875
; %bb.874:                              ;   in Loop: Header=BB4_77 Depth=1
	v_or_b32_e32 v112, 64, v112
	s_waitcnt lgkmcnt(0)
	ds_write_b32 v0, v2
	s_trap 2
.LBB4_875:                              ;   in Loop: Header=BB4_77 Depth=1
	s_or_b64 exec, exec, s[40:41]
.LBB4_876:                              ;   in Loop: Header=BB4_77 Depth=1
	s_or_b64 exec, exec, s[94:95]
	v_and_b32_e32 v2, 0x100, v112
	v_cmp_ne_u32_e32 vcc, 0, v2
	v_and_b32_e32 v2, 7, v8
	s_mov_b64 s[40:41], -1
	;;#ASMSTART
	s_wakeup
	;;#ASMEND
                                        ; implicit-def: $vgpr8_vgpr9
	s_and_saveexec_b64 s[94:95], vcc
	s_cbranch_execz .LBB4_880
; %bb.877:                              ;   in Loop: Header=BB4_77 Depth=1
	v_mad_u64_u32 v[12:13], s[40:41], v2, 24, v[6:7]
	flat_load_dword v8, v[12:13]
	s_waitcnt vmcnt(0) lgkmcnt(0)
	v_cmp_ne_u32_e32 vcc, 1, v8
	v_cmp_eq_u32_e64 s[40:41], 1, v8
                                        ; implicit-def: $vgpr8_vgpr9
	s_and_saveexec_b64 s[30:31], s[40:41]
	s_cbranch_execz .LBB4_879
; %bb.878:                              ;   in Loop: Header=BB4_77 Depth=1
	flat_load_dword v8, v[12:13] offset:4 sc0 sc1
	s_waitcnt vmcnt(0) lgkmcnt(0)
	v_ashrrev_i32_e32 v9, 31, v8
.LBB4_879:                              ;   in Loop: Header=BB4_77 Depth=1
	s_or_b64 exec, exec, s[30:31]
	s_orn2_b64 s[40:41], vcc, exec
.LBB4_880:                              ;   in Loop: Header=BB4_77 Depth=1
	s_or_b64 exec, exec, s[94:95]
	s_and_saveexec_b64 s[94:95], s[40:41]
; %bb.881:                              ;   in Loop: Header=BB4_77 Depth=1
	v_mad_i64_i32 v[8:9], s[40:41], v2, v22, 0
; %bb.882:                              ;   in Loop: Header=BB4_77 Depth=1
	s_or_b64 exec, exec, s[94:95]
	v_and_b32_e32 v2, 0x2000, v112
	v_lshl_add_u64 v[8:9], v[24:25], 0, v[8:9]
	v_cmp_ne_u32_e32 vcc, 0, v2
	ds_write_b64 v0, v[8:9] offset:720
	s_and_saveexec_b64 s[40:41], vcc
	s_cbranch_execz .LBB4_884
; %bb.883:                              ;   in Loop: Header=BB4_77 Depth=1
	ds_read_b64 v[8:9], v0 offset:872
	s_waitcnt lgkmcnt(0)
	v_lshl_add_u64 v[8:9], v[8:9], 0, 1
	ds_write_b64 v0, v[8:9] offset:872
.LBB4_884:                              ;   in Loop: Header=BB4_77 Depth=1
	s_or_b64 exec, exec, s[40:41]
	v_mov_b64_e32 v[8:9], v[10:11]
	s_or_b64 exec, exec, s[92:93]
	s_and_saveexec_b64 s[40:41], s[10:11]
	s_cbranch_execnz .LBB4_862
.LBB4_885:                              ;   in Loop: Header=BB4_77 Depth=1
	s_or_b64 exec, exec, s[40:41]
	s_and_saveexec_b64 s[40:41], s[24:25]
	s_xor_b64 s[40:41], exec, s[40:41]
	s_cbranch_execz .LBB4_954
.LBB4_886:                              ;   in Loop: Header=BB4_77 Depth=1
	s_trap 2
	ds_read_b32 v2, v0
	v_sub_u32_e32 v10, v41, v83
	v_min_i32_e32 v10, v82, v10
	v_cmp_lt_i32_e32 vcc, 0, v10
	s_waitcnt lgkmcnt(0)
	v_readfirstlane_b32 s92, v2
	s_cmp_eq_u32 s92, 0
	s_cselect_b64 s[92:93], -1, 0
	v_and_b32_e32 v2, 16, v112
	s_and_b64 s[92:93], vcc, s[92:93]
	v_cmp_ne_u32_e32 vcc, 0, v2
	s_and_b64 s[94:95], vcc, s[92:93]
	s_and_saveexec_b64 s[92:93], s[94:95]
	s_cbranch_execz .LBB4_888
; %bb.887:                              ;   in Loop: Header=BB4_77 Depth=1
	buffer_wbl2 sc1
	s_waitcnt vmcnt(0)
	buffer_inv sc1
.LBB4_888:                              ;   in Loop: Header=BB4_77 Depth=1
	s_or_b64 exec, exec, s[92:93]
	s_andn2_saveexec_b64 s[40:41], s[40:41]
	s_cbranch_execz .LBB4_998
	s_branch .LBB4_955
.LBB4_889:                              ;   in Loop: Header=BB4_77 Depth=1
	s_or_b64 exec, exec, s[36:37]
	s_and_saveexec_b64 vcc, s[38:39]
	s_xor_b64 vcc, exec, vcc
	s_cbranch_execz .LBB4_891
; %bb.890:                              ;   in Loop: Header=BB4_77 Depth=1
	ds_write_b32 v0, v114
	s_trap 2
.LBB4_891:                              ;   in Loop: Header=BB4_77 Depth=1
	s_or_b64 exec, exec, s[34:35]
	;;#ASMSTART
	s_wakeup
	;;#ASMEND
.LBB4_892:                              ;   in Loop: Header=BB4_77 Depth=1
	s_or_b64 exec, exec, s[30:31]
.LBB4_893:                              ;   in Loop: Header=BB4_77 Depth=1
	s_andn2_saveexec_b64 s[94:95], s[94:95]
	s_cbranch_execz .LBB4_895
; %bb.894:                              ;   in Loop: Header=BB4_77 Depth=1
	;;#ASMSTART
	s_waitcnt lgkmcnt(0) vmcnt(0)
	;;#ASMEND
	s_barrier
.LBB4_895:                              ;   in Loop: Header=BB4_77 Depth=1
	s_or_b64 exec, exec, s[94:95]
	s_or_b64 exec, exec, s[28:29]
	v_cmp_ne_u32_e32 vcc, 0, v10
	s_and_saveexec_b64 s[28:29], vcc
	s_cbranch_execz .LBB4_899
.LBB4_896:                              ;   in Loop: Header=BB4_77 Depth=1
	s_and_saveexec_b64 s[94:95], s[14:15]
	s_cbranch_execz .LBB4_898
; %bb.897:                              ;   in Loop: Header=BB4_77 Depth=1
	flat_store_dword v[28:29], v114 sc0 sc1
.LBB4_898:                              ;   in Loop: Header=BB4_77 Depth=1
	s_or_b64 exec, exec, s[94:95]
	v_lshl_add_u64 v[8:9], v[8:9], 0, 1
	flat_store_dwordx2 v[20:21], v[8:9] sc0 sc1
.LBB4_899:                              ;   in Loop: Header=BB4_77 Depth=1
	s_or_b64 exec, exec, s[28:29]
	v_mov_b32_e32 v2, v82
.LBB4_900:                              ;   in Loop: Header=BB4_77 Depth=1
	s_or_b64 exec, exec, s[92:93]
	s_mov_b64 s[92:93], s[42:43]
	s_mov_b64 s[94:95], s[40:41]
	s_and_saveexec_b64 s[28:29], s[26:27]
	s_cbranch_execz .LBB4_987
; %bb.901:                              ;   in Loop: Header=BB4_77 Depth=1
	v_sub_u32_e32 v2, v41, v2
	v_min_i32_e32 v10, v82, v2
	v_and_b32_e32 v2, 8, v112
	v_cmp_ne_u32_e32 vcc, 0, v2
	s_and_saveexec_b64 s[92:93], vcc
	s_cbranch_execz .LBB4_911
; %bb.902:                              ;   in Loop: Header=BB4_77 Depth=1
	s_waitcnt vmcnt(0) lgkmcnt(0)
	v_lshl_add_u64 v[82:83], v[32:33], 0, 8
	v_lshl_add_u64 v[12:13], v[8:9], 0, 1
	v_cmp_lt_u64_e32 vcc, v[82:83], v[12:13]
	s_and_saveexec_b64 s[94:95], vcc
	s_cbranch_execz .LBB4_927
; %bb.903:                              ;   in Loop: Header=BB4_77 Depth=1
	v_and_b32_e32 v2, 64, v112
	s_mov_b32 s66, 0
	v_cmp_eq_u32_e32 vcc, 0, v2
	s_mov_b64 s[30:31], 0
                                        ; implicit-def: $sgpr34_sgpr35
                                        ; implicit-def: $sgpr36_sgpr37
                                        ; implicit-def: $sgpr38_sgpr39
	s_branch .LBB4_907
.LBB4_904:                              ;   in Loop: Header=BB4_907 Depth=2
	s_waitcnt vmcnt(0) lgkmcnt(0)
	v_lshl_add_u64 v[82:83], v[32:33], 0, 8
	v_cmp_ge_u64_e64 s[26:27], v[82:83], v[12:13]
	s_or_b64 s[52:53], s[52:53], exec
	s_orn2_b64 s[50:51], s[26:27], exec
.LBB4_905:                              ;   in Loop: Header=BB4_907 Depth=2
	s_or_b64 exec, exec, s[64:65]
	s_andn2_b64 s[26:27], s[38:39], exec
	s_and_b64 s[38:39], s[52:53], exec
	s_or_b64 s[38:39], s[26:27], s[38:39]
	s_andn2_b64 s[26:27], s[36:37], exec
	s_and_b64 s[36:37], s[50:51], exec
	s_or_b64 s[36:37], s[26:27], s[36:37]
.LBB4_906:                              ;   in Loop: Header=BB4_907 Depth=2
	s_or_b64 exec, exec, s[48:49]
	s_and_b64 s[26:27], exec, s[36:37]
	s_or_b64 s[30:31], s[26:27], s[30:31]
	s_andn2_b64 s[26:27], s[34:35], exec
	s_and_b64 s[34:35], s[38:39], exec
	s_or_b64 s[34:35], s[26:27], s[34:35]
	s_andn2_b64 exec, exec, s[30:31]
	s_cbranch_execz .LBB4_924
.LBB4_907:                              ;   Parent Loop BB4_77 Depth=1
                                        ; =>  This Inner Loop Header: Depth=2
	s_sleep 1
	s_waitcnt vmcnt(0) lgkmcnt(0)
	flat_load_dwordx2 v[32:33], v[20:21] sc0 sc1
	s_or_b64 s[38:39], s[38:39], exec
	s_or_b64 s[36:37], s[36:37], exec
                                        ; implicit-def: $vgpr2
	s_and_saveexec_b64 s[48:49], vcc
	s_cbranch_execz .LBB4_906
; %bb.908:                              ;   in Loop: Header=BB4_907 Depth=2
	s_cmpk_lt_i32 s66, 0x270f
	s_cselect_b64 s[54:55], -1, 0
	s_cmpk_gt_i32 s66, 0x270e
	s_mov_b64 s[50:51], -1
	s_cbranch_scc0 .LBB4_910
; %bb.909:                              ;   in Loop: Header=BB4_907 Depth=2
	s_trap 2
	ds_read_b64 v[82:83], v0
	s_andn2_b64 s[54:55], s[54:55], exec
	s_mov_b32 s66, 0
	s_mov_b64 s[52:53], 0
	s_waitcnt vmcnt(0) lgkmcnt(0)
	flat_load_dword v2, v[82:83] sc0 sc1
	s_waitcnt vmcnt(0) lgkmcnt(0)
	buffer_inv sc0 sc1
	v_cmp_eq_u32_e64 s[26:27], 0, v2
	s_and_b64 s[26:27], s[26:27], exec
	s_or_b64 s[54:55], s[54:55], s[26:27]
	s_and_saveexec_b64 s[64:65], s[54:55]
	s_cbranch_execz .LBB4_905
	s_branch .LBB4_904
.LBB4_910:                              ;   in Loop: Header=BB4_907 Depth=2
	s_add_i32 s66, s66, 1
	s_mov_b64 s[52:53], -1
                                        ; implicit-def: $vgpr2
	s_and_saveexec_b64 s[64:65], s[54:55]
	s_cbranch_execz .LBB4_905
	s_branch .LBB4_904
.LBB4_911:                              ;   in Loop: Header=BB4_77 Depth=1
	s_or_b64 exec, exec, s[92:93]
	s_and_saveexec_b64 s[26:27], s[10:11]
	s_cbranch_execnz .LBB4_936
.LBB4_912:                              ;   in Loop: Header=BB4_77 Depth=1
	s_or_b64 exec, exec, s[26:27]
                                        ; implicit-def: $vgpr2
	s_and_saveexec_b64 s[26:27], s[78:79]
	s_xor_b64 s[26:27], exec, s[26:27]
	s_cbranch_execz .LBB4_980
.LBB4_913:                              ;   in Loop: Header=BB4_77 Depth=1
	s_and_saveexec_b64 s[92:93], s[60:61]
	s_xor_b64 s[92:93], exec, s[92:93]
	s_cbranch_execz .LBB4_970
; %bb.914:                              ;   in Loop: Header=BB4_77 Depth=1
	s_and_saveexec_b64 s[94:95], s[16:17]
	s_cbranch_execz .LBB4_969
; %bb.915:                              ;   in Loop: Header=BB4_77 Depth=1
	s_mov_b64 s[34:35], exec
	v_mbcnt_lo_u32_b32 v2, s34, 0
	v_mbcnt_hi_u32_b32 v2, s35, v2
	v_cmp_eq_u32_e32 vcc, 0, v2
	;;#ASMSTART
	s_waitcnt lgkmcnt(0) vmcnt(0)
	;;#ASMEND
	s_and_saveexec_b64 s[30:31], vcc
	s_cbranch_execz .LBB4_917
; %bb.916:                              ;   in Loop: Header=BB4_77 Depth=1
	s_bcnt1_i32_b64 vcc_lo, s[34:35]
	v_mov_b32_e32 v2, vcc_lo
	s_waitcnt lgkmcnt(0)
	ds_add_u64 v0, v[2:3]
	s_trap 2
.LBB4_917:                              ;   in Loop: Header=BB4_77 Depth=1
	s_or_b64 exec, exec, s[30:31]
	s_trap 2
	ds_read_b64 v[10:11], v0
	s_waitcnt lgkmcnt(0)
	v_lshl_add_u64 v[26:27], v[26:27], 0, v[34:35]
	v_cmp_lt_u64_e32 vcc, v[10:11], v[26:27]
	s_and_saveexec_b64 s[30:31], vcc
	s_cbranch_execz .LBB4_968
; %bb.918:                              ;   in Loop: Header=BB4_77 Depth=1
	s_mov_b32 s52, 0
	s_mov_b64 s[34:35], 0
                                        ; implicit-def: $sgpr36_sgpr37
                                        ; implicit-def: $sgpr38_sgpr39
	s_branch .LBB4_920
.LBB4_919:                              ;   in Loop: Header=BB4_920 Depth=2
	s_or_b64 exec, exec, s[50:51]
	s_and_b64 vcc, exec, vcc
	s_or_b64 s[34:35], vcc, s[34:35]
	s_andn2_b64 vcc, s[36:37], exec
	s_and_b64 s[36:37], s[38:39], exec
	s_or_b64 s[36:37], vcc, s[36:37]
	s_andn2_b64 exec, exec, s[34:35]
	s_cbranch_execz .LBB4_966
.LBB4_920:                              ;   Parent Loop BB4_77 Depth=1
                                        ; =>  This Inner Loop Header: Depth=2
	s_add_i32 s52, s52, 1
	s_cmpk_lg_i32 s52, 0x2710
	s_cselect_b64 s[48:49], -1, 0
	s_and_b64 vcc, exec, s[48:49]
	s_cbranch_vccz .LBB4_922
; %bb.921:                              ;   in Loop: Header=BB4_920 Depth=2
	s_mov_b64 vcc, -1
	s_or_b64 s[38:39], s[38:39], exec
	s_and_saveexec_b64 s[50:51], s[48:49]
	s_cbranch_execz .LBB4_919
	s_branch .LBB4_923
.LBB4_922:                              ;   in Loop: Header=BB4_920 Depth=2
	s_trap 2
	ds_read_b64 v[10:11], v0
	s_andn2_b64 s[48:49], s[48:49], exec
	s_mov_b32 s52, 0
	s_waitcnt vmcnt(0) lgkmcnt(0)
	flat_load_dword v2, v[10:11] sc0 sc1
	s_waitcnt vmcnt(0) lgkmcnt(0)
	buffer_inv sc0 sc1
	v_cmp_eq_u32_e32 vcc, 0, v2
	s_and_b64 vcc, vcc, exec
	s_or_b64 s[48:49], s[48:49], vcc
	s_mov_b64 vcc, -1
	s_or_b64 s[38:39], s[38:39], exec
	s_and_saveexec_b64 s[50:51], s[48:49]
	s_cbranch_execz .LBB4_919
.LBB4_923:                              ;   in Loop: Header=BB4_920 Depth=2
	s_sleep 1
	s_trap 2
	ds_read_b64 v[10:11], v0
	s_waitcnt lgkmcnt(0)
	s_andn2_b64 s[38:39], s[38:39], exec
	v_cmp_ge_u64_e32 vcc, v[10:11], v[26:27]
	s_orn2_b64 vcc, vcc, exec
	s_branch .LBB4_919
.LBB4_924:                              ;   in Loop: Header=BB4_77 Depth=1
	s_or_b64 exec, exec, s[30:31]
	s_xor_b64 s[26:27], s[34:35], -1
	s_and_saveexec_b64 vcc, s[26:27]
	s_xor_b64 s[26:27], exec, vcc
	s_cbranch_execz .LBB4_926
; %bb.925:                              ;   in Loop: Header=BB4_77 Depth=1
	v_or_b32_e32 v112, 64, v112
	s_waitcnt lgkmcnt(0)
	ds_write_b32 v0, v2
	s_trap 2
.LBB4_926:                              ;   in Loop: Header=BB4_77 Depth=1
	s_or_b64 exec, exec, s[26:27]
.LBB4_927:                              ;   in Loop: Header=BB4_77 Depth=1
	s_or_b64 exec, exec, s[94:95]
	v_and_b32_e32 v2, 0x100, v112
	v_cmp_ne_u32_e32 vcc, 0, v2
	v_and_b32_e32 v2, 7, v8
	s_mov_b64 s[26:27], -1
	;;#ASMSTART
	s_wakeup
	;;#ASMEND
                                        ; implicit-def: $vgpr8_vgpr9
	s_and_saveexec_b64 s[94:95], vcc
	s_cbranch_execz .LBB4_931
; %bb.928:                              ;   in Loop: Header=BB4_77 Depth=1
	v_mad_u64_u32 v[82:83], s[26:27], v2, 24, v[6:7]
	flat_load_dword v8, v[82:83]
	v_ashrrev_i32_e32 v11, 31, v10
	flat_store_dwordx2 v[82:83], v[10:11] offset:8
	s_waitcnt vmcnt(0) lgkmcnt(0)
	v_cmp_ne_u32_e32 vcc, 1, v8
	v_cmp_eq_u32_e64 s[26:27], 1, v8
                                        ; implicit-def: $vgpr8_vgpr9
	s_and_saveexec_b64 s[30:31], s[26:27]
	s_cbranch_execz .LBB4_930
; %bb.929:                              ;   in Loop: Header=BB4_77 Depth=1
	flat_load_dword v8, v[82:83] offset:4 sc0 sc1
	s_waitcnt vmcnt(0) lgkmcnt(0)
	v_ashrrev_i32_e32 v9, 31, v8
.LBB4_930:                              ;   in Loop: Header=BB4_77 Depth=1
	s_or_b64 exec, exec, s[30:31]
	s_orn2_b64 s[26:27], vcc, exec
.LBB4_931:                              ;   in Loop: Header=BB4_77 Depth=1
	s_or_b64 exec, exec, s[94:95]
	s_and_saveexec_b64 s[94:95], s[26:27]
; %bb.932:                              ;   in Loop: Header=BB4_77 Depth=1
	v_mad_i64_i32 v[8:9], s[26:27], v2, v22, 0
; %bb.933:                              ;   in Loop: Header=BB4_77 Depth=1
	s_or_b64 exec, exec, s[94:95]
	v_and_b32_e32 v2, 0x2000, v112
	v_lshl_add_u64 v[8:9], v[24:25], 0, v[8:9]
	v_cmp_ne_u32_e32 vcc, 0, v2
	ds_write_b64 v0, v[8:9] offset:784
	s_and_saveexec_b64 s[26:27], vcc
	s_cbranch_execz .LBB4_935
; %bb.934:                              ;   in Loop: Header=BB4_77 Depth=1
	ds_read_b64 v[8:9], v0 offset:872
	s_waitcnt lgkmcnt(0)
	v_lshl_add_u64 v[8:9], v[8:9], 0, 1
	ds_write_b64 v0, v[8:9] offset:872
.LBB4_935:                              ;   in Loop: Header=BB4_77 Depth=1
	s_or_b64 exec, exec, s[26:27]
	v_mov_b64_e32 v[8:9], v[12:13]
	s_or_b64 exec, exec, s[92:93]
	s_and_saveexec_b64 s[26:27], s[10:11]
	s_cbranch_execz .LBB4_912
.LBB4_936:                              ;   in Loop: Header=BB4_77 Depth=1
	s_and_saveexec_b64 s[92:93], s[60:61]
	s_xor_b64 s[92:93], exec, s[92:93]
	s_cbranch_execz .LBB4_977
; %bb.937:                              ;   in Loop: Header=BB4_77 Depth=1
	s_and_saveexec_b64 s[94:95], s[16:17]
	s_cbranch_execz .LBB4_976
; %bb.938:                              ;   in Loop: Header=BB4_77 Depth=1
	s_mov_b64 s[34:35], exec
	v_mbcnt_lo_u32_b32 v2, s34, 0
	v_mbcnt_hi_u32_b32 v2, s35, v2
	v_cmp_eq_u32_e32 vcc, 0, v2
	s_waitcnt lgkmcnt(0)
	s_and_saveexec_b64 s[30:31], vcc
	s_cbranch_execz .LBB4_940
; %bb.939:                              ;   in Loop: Header=BB4_77 Depth=1
	s_bcnt1_i32_b64 vcc_lo, s[34:35]
	v_mov_b32_e32 v2, vcc_lo
	ds_add_u64 v0, v[2:3]
	s_trap 2
.LBB4_940:                              ;   in Loop: Header=BB4_77 Depth=1
	s_or_b64 exec, exec, s[30:31]
	s_trap 2
	ds_read_b64 v[12:13], v0
	s_waitcnt lgkmcnt(0)
	v_lshl_add_u64 v[26:27], v[26:27], 0, v[34:35]
	v_cmp_lt_u64_e32 vcc, v[12:13], v[26:27]
	s_and_saveexec_b64 s[30:31], vcc
	s_cbranch_execz .LBB4_975
; %bb.941:                              ;   in Loop: Header=BB4_77 Depth=1
	s_mov_b32 s52, 0
	s_mov_b64 s[34:35], 0
                                        ; implicit-def: $sgpr36_sgpr37
                                        ; implicit-def: $sgpr38_sgpr39
	s_branch .LBB4_943
.LBB4_942:                              ;   in Loop: Header=BB4_943 Depth=2
	s_or_b64 exec, exec, s[50:51]
	s_and_b64 vcc, exec, vcc
	s_or_b64 s[34:35], vcc, s[34:35]
	s_andn2_b64 vcc, s[36:37], exec
	s_and_b64 s[36:37], s[38:39], exec
	s_or_b64 s[36:37], vcc, s[36:37]
	s_andn2_b64 exec, exec, s[34:35]
	s_cbranch_execz .LBB4_973
.LBB4_943:                              ;   Parent Loop BB4_77 Depth=1
                                        ; =>  This Inner Loop Header: Depth=2
	s_add_i32 s52, s52, 1
	s_cmpk_lg_i32 s52, 0x2710
	s_cselect_b64 s[48:49], -1, 0
	s_and_b64 vcc, exec, s[48:49]
	s_cbranch_vccz .LBB4_945
; %bb.944:                              ;   in Loop: Header=BB4_943 Depth=2
	s_mov_b64 vcc, -1
	s_or_b64 s[38:39], s[38:39], exec
	s_and_saveexec_b64 s[50:51], s[48:49]
	s_cbranch_execz .LBB4_942
	s_branch .LBB4_946
.LBB4_945:                              ;   in Loop: Header=BB4_943 Depth=2
	s_trap 2
	ds_read_b64 v[12:13], v0
	s_andn2_b64 s[48:49], s[48:49], exec
	s_mov_b32 s52, 0
	s_waitcnt vmcnt(0) lgkmcnt(0)
	flat_load_dword v2, v[12:13] sc0 sc1
	s_waitcnt vmcnt(0) lgkmcnt(0)
	buffer_inv sc0 sc1
	v_cmp_eq_u32_e32 vcc, 0, v2
	s_and_b64 vcc, vcc, exec
	s_or_b64 s[48:49], s[48:49], vcc
	s_mov_b64 vcc, -1
	s_or_b64 s[38:39], s[38:39], exec
	s_and_saveexec_b64 s[50:51], s[48:49]
	s_cbranch_execz .LBB4_942
.LBB4_946:                              ;   in Loop: Header=BB4_943 Depth=2
	s_sleep 1
	s_trap 2
	ds_read_b64 v[12:13], v0
	s_waitcnt lgkmcnt(0)
	s_andn2_b64 s[38:39], s[38:39], exec
	v_cmp_ge_u64_e32 vcc, v[12:13], v[26:27]
	s_orn2_b64 vcc, vcc, exec
	s_branch .LBB4_942
.LBB4_947:                              ;   in Loop: Header=BB4_77 Depth=1
	s_or_b64 exec, exec, s[34:35]
	s_and_saveexec_b64 vcc, s[36:37]
	s_xor_b64 vcc, exec, vcc
	s_cbranch_execz .LBB4_949
; %bb.948:                              ;   in Loop: Header=BB4_77 Depth=1
	ds_write_b32 v0, v114
	s_trap 2
.LBB4_949:                              ;   in Loop: Header=BB4_77 Depth=1
	s_or_b64 exec, exec, s[30:31]
	;;#ASMSTART
	s_wakeup
	;;#ASMEND
.LBB4_950:                              ;   in Loop: Header=BB4_77 Depth=1
	s_or_b64 exec, exec, s[94:95]
.LBB4_951:                              ;   in Loop: Header=BB4_77 Depth=1
	s_andn2_saveexec_b64 s[92:93], s[92:93]
	s_cbranch_execz .LBB4_953
; %bb.952:                              ;   in Loop: Header=BB4_77 Depth=1
	s_waitcnt lgkmcnt(0)
	s_barrier
.LBB4_953:                              ;   in Loop: Header=BB4_77 Depth=1
	s_or_b64 exec, exec, s[92:93]
	s_or_b64 exec, exec, s[40:41]
	s_and_saveexec_b64 s[40:41], s[24:25]
	s_xor_b64 s[40:41], exec, s[40:41]
	s_cbranch_execnz .LBB4_886
.LBB4_954:                              ;   in Loop: Header=BB4_77 Depth=1
	s_andn2_saveexec_b64 s[40:41], s[40:41]
	s_cbranch_execz .LBB4_998
.LBB4_955:                              ;   in Loop: Header=BB4_77 Depth=1
	s_and_saveexec_b64 s[92:93], s[60:61]
	s_xor_b64 s[92:93], exec, s[92:93]
	s_cbranch_execz .LBB4_995
; %bb.956:                              ;   in Loop: Header=BB4_77 Depth=1
	s_and_saveexec_b64 s[94:95], s[16:17]
	s_cbranch_execz .LBB4_994
; %bb.957:                              ;   in Loop: Header=BB4_77 Depth=1
	s_mov_b64 s[34:35], exec
	v_mbcnt_lo_u32_b32 v2, s34, 0
	v_mbcnt_hi_u32_b32 v2, s35, v2
	v_cmp_eq_u32_e32 vcc, 0, v2
	;;#ASMSTART
	s_waitcnt lgkmcnt(0) vmcnt(0)
	;;#ASMEND
	s_and_saveexec_b64 s[30:31], vcc
	s_cbranch_execz .LBB4_959
; %bb.958:                              ;   in Loop: Header=BB4_77 Depth=1
	s_bcnt1_i32_b64 vcc_lo, s[34:35]
	v_mov_b32_e32 v2, vcc_lo
	s_waitcnt lgkmcnt(0)
	ds_add_u64 v0, v[2:3]
	s_trap 2
.LBB4_959:                              ;   in Loop: Header=BB4_77 Depth=1
	s_or_b64 exec, exec, s[30:31]
	s_trap 2
	ds_read_b64 v[10:11], v0
	s_waitcnt lgkmcnt(0)
	v_lshl_add_u64 v[26:27], v[26:27], 0, v[34:35]
	v_cmp_lt_u64_e32 vcc, v[10:11], v[26:27]
	s_and_saveexec_b64 s[30:31], vcc
	s_cbranch_execz .LBB4_993
; %bb.960:                              ;   in Loop: Header=BB4_77 Depth=1
	s_mov_b32 s52, 0
	s_mov_b64 s[34:35], 0
                                        ; implicit-def: $sgpr36_sgpr37
                                        ; implicit-def: $sgpr38_sgpr39
	s_branch .LBB4_962
.LBB4_961:                              ;   in Loop: Header=BB4_962 Depth=2
	s_or_b64 exec, exec, s[50:51]
	s_and_b64 vcc, exec, vcc
	s_or_b64 s[34:35], vcc, s[34:35]
	s_andn2_b64 vcc, s[36:37], exec
	s_and_b64 s[36:37], s[38:39], exec
	s_or_b64 s[36:37], vcc, s[36:37]
	s_andn2_b64 exec, exec, s[34:35]
	s_cbranch_execz .LBB4_991
.LBB4_962:                              ;   Parent Loop BB4_77 Depth=1
                                        ; =>  This Inner Loop Header: Depth=2
	s_add_i32 s52, s52, 1
	s_cmpk_lg_i32 s52, 0x2710
	s_cselect_b64 s[48:49], -1, 0
	s_and_b64 vcc, exec, s[48:49]
	s_cbranch_vccz .LBB4_964
; %bb.963:                              ;   in Loop: Header=BB4_962 Depth=2
	s_mov_b64 vcc, -1
	s_or_b64 s[38:39], s[38:39], exec
	s_and_saveexec_b64 s[50:51], s[48:49]
	s_cbranch_execz .LBB4_961
	s_branch .LBB4_965
.LBB4_964:                              ;   in Loop: Header=BB4_962 Depth=2
	s_trap 2
	ds_read_b64 v[10:11], v0
	s_andn2_b64 s[48:49], s[48:49], exec
	s_mov_b32 s52, 0
	s_waitcnt vmcnt(0) lgkmcnt(0)
	flat_load_dword v2, v[10:11] sc0 sc1
	s_waitcnt vmcnt(0) lgkmcnt(0)
	buffer_inv sc0 sc1
	v_cmp_eq_u32_e32 vcc, 0, v2
	s_and_b64 vcc, vcc, exec
	s_or_b64 s[48:49], s[48:49], vcc
	s_mov_b64 vcc, -1
	s_or_b64 s[38:39], s[38:39], exec
	s_and_saveexec_b64 s[50:51], s[48:49]
	s_cbranch_execz .LBB4_961
.LBB4_965:                              ;   in Loop: Header=BB4_962 Depth=2
	s_sleep 1
	s_trap 2
	ds_read_b64 v[10:11], v0
	s_waitcnt lgkmcnt(0)
	s_andn2_b64 s[38:39], s[38:39], exec
	v_cmp_ge_u64_e32 vcc, v[10:11], v[26:27]
	s_orn2_b64 vcc, vcc, exec
	s_branch .LBB4_961
.LBB4_966:                              ;   in Loop: Header=BB4_77 Depth=1
	s_or_b64 exec, exec, s[34:35]
	s_and_saveexec_b64 vcc, s[36:37]
	s_xor_b64 vcc, exec, vcc
	s_cbranch_execz .LBB4_968
; %bb.967:                              ;   in Loop: Header=BB4_77 Depth=1
	ds_write_b32 v0, v114
	s_trap 2
.LBB4_968:                              ;   in Loop: Header=BB4_77 Depth=1
	s_or_b64 exec, exec, s[30:31]
	;;#ASMSTART
	s_wakeup
	;;#ASMEND
.LBB4_969:                              ;   in Loop: Header=BB4_77 Depth=1
	s_or_b64 exec, exec, s[94:95]
.LBB4_970:                              ;   in Loop: Header=BB4_77 Depth=1
	s_andn2_saveexec_b64 s[92:93], s[92:93]
	s_cbranch_execz .LBB4_972
; %bb.971:                              ;   in Loop: Header=BB4_77 Depth=1
	;;#ASMSTART
	s_waitcnt lgkmcnt(0) vmcnt(0)
	;;#ASMEND
	s_barrier
.LBB4_972:                              ;   in Loop: Header=BB4_77 Depth=1
	s_or_b64 exec, exec, s[92:93]
	v_and_b32_e32 v2, 16, v112
                                        ; implicit-def: $vgpr10
	s_andn2_saveexec_b64 s[26:27], s[26:27]
	s_cbranch_execz .LBB4_984
	s_branch .LBB4_981
.LBB4_973:                              ;   in Loop: Header=BB4_77 Depth=1
	s_or_b64 exec, exec, s[34:35]
	s_and_saveexec_b64 vcc, s[36:37]
	s_xor_b64 vcc, exec, vcc
	s_cbranch_execz .LBB4_975
; %bb.974:                              ;   in Loop: Header=BB4_77 Depth=1
	ds_write_b32 v0, v114
	s_trap 2
.LBB4_975:                              ;   in Loop: Header=BB4_77 Depth=1
	s_or_b64 exec, exec, s[30:31]
	;;#ASMSTART
	s_wakeup
	;;#ASMEND
.LBB4_976:                              ;   in Loop: Header=BB4_77 Depth=1
	s_or_b64 exec, exec, s[94:95]
.LBB4_977:                              ;   in Loop: Header=BB4_77 Depth=1
	s_andn2_saveexec_b64 s[92:93], s[92:93]
	s_cbranch_execz .LBB4_979
; %bb.978:                              ;   in Loop: Header=BB4_77 Depth=1
	s_waitcnt lgkmcnt(0)
	s_barrier
.LBB4_979:                              ;   in Loop: Header=BB4_77 Depth=1
	s_or_b64 exec, exec, s[92:93]
	s_or_b64 exec, exec, s[26:27]
                                        ; implicit-def: $vgpr2
	s_and_saveexec_b64 s[26:27], s[78:79]
	s_xor_b64 s[26:27], exec, s[26:27]
	s_cbranch_execnz .LBB4_913
.LBB4_980:                              ;   in Loop: Header=BB4_77 Depth=1
	s_andn2_saveexec_b64 s[26:27], s[26:27]
	s_cbranch_execz .LBB4_984
.LBB4_981:                              ;   in Loop: Header=BB4_77 Depth=1
	s_trap 2
	ds_read_b32 v11, v0
	v_cmp_lt_i32_e32 vcc, 0, v10
	v_and_b32_e32 v10, 16, v112
	v_and_b32_e32 v2, 16, v112
	s_waitcnt lgkmcnt(0)
	v_readfirstlane_b32 s92, v11
	s_cmp_eq_u32 s92, 0
	s_cselect_b64 s[92:93], -1, 0
	s_and_b64 s[92:93], vcc, s[92:93]
	v_cmp_ne_u32_e32 vcc, 0, v10
	s_and_b64 s[94:95], vcc, s[92:93]
	s_and_saveexec_b64 s[92:93], s[94:95]
	s_cbranch_execz .LBB4_983
; %bb.982:                              ;   in Loop: Header=BB4_77 Depth=1
	v_mov_b32_e32 v2, 1
	buffer_wbl2 sc1
	s_waitcnt vmcnt(0)
	buffer_inv sc1
.LBB4_983:                              ;   in Loop: Header=BB4_77 Depth=1
	s_or_b64 exec, exec, s[92:93]
.LBB4_984:                              ;   in Loop: Header=BB4_77 Depth=1
	s_or_b64 exec, exec, s[26:27]
	v_cmp_ne_u32_e32 vcc, 0, v2
	s_mov_b64 s[26:27], s[42:43]
	s_mov_b64 s[92:93], s[40:41]
	s_and_saveexec_b64 s[94:95], vcc
; %bb.985:                              ;   in Loop: Header=BB4_77 Depth=1
	s_andn2_b64 s[26:27], s[40:41], exec
	s_and_b64 s[92:93], s[12:13], exec
	s_or_b64 s[92:93], s[26:27], s[92:93]
	s_andn2_b64 s[26:27], s[42:43], exec
	s_and_b64 vcc, s[14:15], exec
	s_or_b64 s[26:27], s[26:27], vcc
; %bb.986:                              ;   in Loop: Header=BB4_77 Depth=1
	s_or_b64 exec, exec, s[94:95]
	s_andn2_b64 s[94:95], s[40:41], exec
	s_and_b64 s[92:93], s[92:93], exec
	s_or_b64 s[94:95], s[94:95], s[92:93]
	s_andn2_b64 s[92:93], s[42:43], exec
	s_and_b64 s[26:27], s[26:27], exec
	s_or_b64 s[92:93], s[92:93], s[26:27]
.LBB4_987:                              ;   in Loop: Header=BB4_77 Depth=1
	s_or_b64 exec, exec, s[28:29]
	s_andn2_b64 s[26:27], s[40:41], exec
	s_and_b64 s[28:29], s[94:95], exec
	s_or_b64 s[40:41], s[26:27], s[28:29]
	s_andn2_b64 s[26:27], s[42:43], exec
	s_and_b64 s[28:29], s[92:93], exec
	s_or_b64 s[42:43], s[26:27], s[28:29]
.LBB4_988:                              ;   in Loop: Header=BB4_77 Depth=1
	s_or_b64 exec, exec, s[44:45]
	s_and_saveexec_b64 s[26:27], s[42:43]
	s_cbranch_execz .LBB4_990
; %bb.989:                              ;   in Loop: Header=BB4_77 Depth=1
	s_or_b64 s[40:41], s[40:41], exec
	flat_store_dword v[28:29], v114 sc0 sc1
.LBB4_990:                              ;   in Loop: Header=BB4_77 Depth=1
	s_or_b64 exec, exec, s[26:27]
	s_andn2_b64 s[26:27], s[88:89], exec
	s_and_b64 s[28:29], s[40:41], exec
	s_or_b64 s[88:89], s[26:27], s[28:29]
	s_or_b64 exec, exec, s[90:91]
	s_and_saveexec_b64 s[26:27], s[88:89]
	s_cbranch_execz .LBB4_76
	s_branch .LBB4_1002
.LBB4_991:                              ;   in Loop: Header=BB4_77 Depth=1
	s_or_b64 exec, exec, s[34:35]
	s_and_saveexec_b64 vcc, s[36:37]
	s_xor_b64 vcc, exec, vcc
	s_cbranch_execz .LBB4_993
; %bb.992:                              ;   in Loop: Header=BB4_77 Depth=1
	ds_write_b32 v0, v114
	s_trap 2
.LBB4_993:                              ;   in Loop: Header=BB4_77 Depth=1
	s_or_b64 exec, exec, s[30:31]
	;;#ASMSTART
	s_wakeup
	;;#ASMEND
.LBB4_994:                              ;   in Loop: Header=BB4_77 Depth=1
	s_or_b64 exec, exec, s[94:95]
.LBB4_995:                              ;   in Loop: Header=BB4_77 Depth=1
	s_andn2_saveexec_b64 s[92:93], s[92:93]
	s_cbranch_execz .LBB4_997
; %bb.996:                              ;   in Loop: Header=BB4_77 Depth=1
	;;#ASMSTART
	s_waitcnt lgkmcnt(0) vmcnt(0)
	;;#ASMEND
	s_barrier
.LBB4_997:                              ;   in Loop: Header=BB4_77 Depth=1
	s_or_b64 exec, exec, s[92:93]
.LBB4_998:                              ;   in Loop: Header=BB4_77 Depth=1
	s_or_b64 exec, exec, s[40:41]
	v_and_b32_e32 v2, 32, v112
	v_cmp_ne_u32_e32 vcc, 0, v2
	s_andn2_b64 s[40:41], s[42:43], exec
	s_and_b64 s[92:93], vcc, exec
	s_or_b64 s[40:41], s[40:41], s[92:93]
.LBB4_999:                              ;   in Loop: Header=BB4_77 Depth=1
	s_or_b64 exec, exec, s[88:89]
	s_andn2_b64 s[42:43], s[42:43], exec
	s_and_b64 s[40:41], s[40:41], exec
	s_or_b64 s[42:43], s[42:43], s[40:41]
.LBB4_1000:                             ;   in Loop: Header=BB4_77 Depth=1
	s_or_b64 exec, exec, s[44:45]
	s_and_b64 s[88:89], s[42:43], exec
                                        ; implicit-def: $vgpr82
                                        ; implicit-def: $vgpr41
                                        ; implicit-def: $vgpr10_vgpr11
	s_andn2_saveexec_b64 s[90:91], s[90:91]
	s_cbranch_execnz .LBB4_86
.LBB4_1001:                             ;   in Loop: Header=BB4_77 Depth=1
	s_or_b64 exec, exec, s[90:91]
	s_and_saveexec_b64 s[26:27], s[88:89]
	s_cbranch_execz .LBB4_76
.LBB4_1002:                             ;   in Loop: Header=BB4_77 Depth=1
	v_lshl_add_u64 v[8:9], v[8:9], 0, 1
	flat_store_dwordx2 v[20:21], v[8:9] sc0 sc1
	s_branch .LBB4_76
.LBB4_1003:
	s_or_b64 exec, exec, s[72:73]
.LBB4_1004:
	s_or_b64 exec, exec, s[58:59]
	v_and_b32_e32 v0, 0x800, v112
	v_cmp_eq_u32_e32 vcc, 0, v0
	s_and_saveexec_b64 s[2:3], vcc
	s_cbranch_execz .LBB4_1037
; %bb.1005:
	v_and_b32_e32 v0, 48, v112
	v_cmp_ne_u32_e32 vcc, 0, v0
	s_and_saveexec_b64 s[0:1], vcc
	s_cbranch_execz .LBB4_1007
; %bb.1006:
	s_waitcnt lgkmcnt(0)
	flat_store_dwordx2 v[18:19], v[8:9] offset:104
.LBB4_1007:
	s_or_b64 exec, exec, s[0:1]
	s_movk_i32 s0, 0x88
	v_and_b32_e32 v0, 0x88, v112
	v_cmp_eq_u32_e32 vcc, s0, v0
	s_and_saveexec_b64 s[4:5], vcc
	s_cbranch_execz .LBB4_1017
; %bb.1008:
	s_waitcnt lgkmcnt(0)
	v_add_u32_e32 v0, -1, v8
	v_and_b32_e32 v0, 7, v0
	v_mad_u64_u32 v[0:1], s[0:1], v0, 24, v[6:7]
	flat_load_dwordx2 v[2:3], v[0:1] offset:8 sc0 sc1
	s_waitcnt vmcnt(0)
	v_and_b32_e32 v4, 64, v112
	v_cmp_eq_u32_e64 s[0:1], 0, v4
	s_mov_b32 s18, 0
	s_waitcnt lgkmcnt(0)
	v_cmp_ne_u64_e32 vcc, -1, v[2:3]
	s_and_b64 s[0:1], vcc, s[0:1]
	s_and_b64 exec, exec, s[0:1]
	s_cbranch_execz .LBB4_1017
; %bb.1009:
	s_mov_b64 s[0:1], 0
                                        ; implicit-def: $sgpr6_sgpr7
                                        ; implicit-def: $sgpr10_sgpr11
	s_branch .LBB4_1012
.LBB4_1010:                             ;   in Loop: Header=BB4_1012 Depth=1
	flat_load_dwordx2 v[4:5], v[0:1] offset:8 sc0 sc1
	s_waitcnt vmcnt(0)
	s_andn2_b64 s[10:11], s[10:11], exec
	s_waitcnt lgkmcnt(0)
	v_cmp_eq_u64_e32 vcc, -1, v[4:5]
	s_orn2_b64 s[14:15], vcc, exec
.LBB4_1011:                             ;   in Loop: Header=BB4_1012 Depth=1
	s_or_b64 exec, exec, s[16:17]
	s_and_b64 s[12:13], exec, s[14:15]
	s_or_b64 s[0:1], s[12:13], s[0:1]
	s_andn2_b64 s[6:7], s[6:7], exec
	s_and_b64 s[12:13], s[10:11], exec
	s_or_b64 s[6:7], s[6:7], s[12:13]
	s_andn2_b64 exec, exec, s[0:1]
	s_cbranch_execz .LBB4_1015
.LBB4_1012:                             ; =>This Inner Loop Header: Depth=1
	s_cmpk_lt_i32 s18, 0x270f
	s_cselect_b64 s[12:13], -1, 0
	s_and_b64 vcc, exec, s[12:13]
	s_cbranch_vccnz .LBB4_1014
; %bb.1013:                             ;   in Loop: Header=BB4_1012 Depth=1
	s_trap 2
	ds_read_b64 v[2:3], v0
	s_andn2_b64 s[12:13], s[12:13], exec
	s_mov_b32 s18, 0
	s_waitcnt lgkmcnt(0)
	flat_load_dword v2, v[2:3] sc0 sc1
	s_waitcnt vmcnt(0) lgkmcnt(0)
	buffer_inv sc0 sc1
	v_cmp_eq_u32_e32 vcc, 0, v2
	s_and_b64 s[14:15], vcc, exec
	s_or_b64 s[12:13], s[12:13], s[14:15]
	s_mov_b64 s[14:15], -1
	s_or_b64 s[10:11], s[10:11], exec
	s_and_saveexec_b64 s[16:17], s[12:13]
	s_cbranch_execz .LBB4_1011
	s_branch .LBB4_1010
.LBB4_1014:                             ;   in Loop: Header=BB4_1012 Depth=1
	s_add_i32 s18, s18, 1
                                        ; implicit-def: $vgpr2
	s_mov_b64 s[14:15], -1
	s_or_b64 s[10:11], s[10:11], exec
	s_and_saveexec_b64 s[16:17], s[12:13]
	s_cbranch_execz .LBB4_1011
	s_branch .LBB4_1010
.LBB4_1015:
	s_or_b64 exec, exec, s[0:1]
	s_and_saveexec_b64 s[0:1], s[6:7]
	s_xor_b64 s[0:1], exec, s[0:1]
	s_cbranch_execz .LBB4_1017
; %bb.1016:
	ds_write_b32 v0, v2
	s_trap 2
.LBB4_1017:
	s_or_b64 exec, exec, s[4:5]
	v_and_b32_e32 v0, 0x2000, v112
	v_cmp_ne_u32_e32 vcc, 0, v0
	s_and_saveexec_b64 s[0:1], vcc
	s_cbranch_execz .LBB4_1019
; %bb.1018:
	ds_read_b64 v[0:1], v0 offset:872
	s_waitcnt lgkmcnt(0)
	flat_store_dwordx2 v[16:17], v[0:1] offset:16
.LBB4_1019:
	s_or_b64 exec, exec, s[0:1]
	v_cmp_ne_u32_e32 vcc, 64, v23
	s_and_b64 exec, exec, vcc
	s_cbranch_execz .LBB4_1037
; %bb.1020:
	v_cmp_ne_u32_sdwa s[0:1], v23, v30 src0_sel:DWORD src1_sel:WORD_0
	s_and_saveexec_b64 s[4:5], s[0:1]
	s_xor_b64 s[0:1], exec, s[4:5]
	s_cbranch_execz .LBB4_1035
; %bb.1021:
	v_and_b32_e32 v0, 63, v31
	v_cmp_eq_u32_e32 vcc, 0, v0
	s_and_saveexec_b64 s[4:5], vcc
	s_cbranch_execz .LBB4_1034
; %bb.1022:
	s_mov_b64 s[10:11], exec
	v_mbcnt_lo_u32_b32 v0, s10, 0
	v_mbcnt_hi_u32_b32 v0, s11, v0
	v_cmp_eq_u32_e32 vcc, 0, v0
	s_waitcnt lgkmcnt(0)
	s_and_saveexec_b64 s[6:7], vcc
	s_cbranch_execz .LBB4_1024
; %bb.1023:
	s_bcnt1_i32_b64 s10, s[10:11]
	v_mov_b32_e32 v0, s10
	v_mov_b32_e32 v1, 0
	ds_add_u64 v0, v[0:1]
	s_trap 2
.LBB4_1024:
	s_or_b64 exec, exec, s[6:7]
	s_trap 2
	ds_read_b64 v[2:3], v0
	s_waitcnt lgkmcnt(0)
	v_lshrrev_b32_e32 v0, 6, v23
	v_mov_b32_e32 v1, 0
	v_lshl_add_u64 v[0:1], v[26:27], 0, v[0:1]
	v_cmp_lt_u64_e32 vcc, v[2:3], v[0:1]
	s_and_saveexec_b64 s[6:7], vcc
	s_cbranch_execz .LBB4_1033
; %bb.1025:
	s_mov_b32 s22, 0
	s_mov_b64 s[10:11], 0
                                        ; implicit-def: $sgpr12_sgpr13
                                        ; implicit-def: $sgpr14_sgpr15
	s_branch .LBB4_1027
.LBB4_1026:                             ;   in Loop: Header=BB4_1027 Depth=1
	s_or_b64 exec, exec, s[18:19]
	s_and_b64 s[16:17], exec, s[20:21]
	s_or_b64 s[10:11], s[16:17], s[10:11]
	s_andn2_b64 s[12:13], s[12:13], exec
	s_and_b64 s[16:17], s[14:15], exec
	s_or_b64 s[12:13], s[12:13], s[16:17]
	s_andn2_b64 exec, exec, s[10:11]
	s_cbranch_execz .LBB4_1031
.LBB4_1027:                             ; =>This Inner Loop Header: Depth=1
	s_add_i32 s22, s22, 1
	s_cmpk_lg_i32 s22, 0x2710
	s_cselect_b64 s[16:17], -1, 0
	s_and_b64 vcc, exec, s[16:17]
	s_cbranch_vccz .LBB4_1029
; %bb.1028:                             ;   in Loop: Header=BB4_1027 Depth=1
	s_mov_b64 s[20:21], -1
	s_or_b64 s[14:15], s[14:15], exec
	s_and_saveexec_b64 s[18:19], s[16:17]
	s_cbranch_execz .LBB4_1026
	s_branch .LBB4_1030
.LBB4_1029:                             ;   in Loop: Header=BB4_1027 Depth=1
	s_trap 2
	ds_read_b64 v[2:3], v0
	s_andn2_b64 s[16:17], s[16:17], exec
	s_mov_b32 s22, 0
	s_waitcnt vmcnt(0) lgkmcnt(0)
	flat_load_dword v2, v[2:3] sc0 sc1
	s_waitcnt vmcnt(0) lgkmcnt(0)
	buffer_inv sc0 sc1
	v_cmp_eq_u32_e32 vcc, 0, v2
	s_and_b64 s[18:19], vcc, exec
	s_or_b64 s[16:17], s[16:17], s[18:19]
	s_mov_b64 s[20:21], -1
	s_or_b64 s[14:15], s[14:15], exec
	s_and_saveexec_b64 s[18:19], s[16:17]
	s_cbranch_execz .LBB4_1026
.LBB4_1030:                             ;   in Loop: Header=BB4_1027 Depth=1
	s_sleep 1
	s_trap 2
	ds_read_b64 v[2:3], v0
	s_waitcnt lgkmcnt(0)
	s_andn2_b64 s[14:15], s[14:15], exec
	v_cmp_ge_u64_e32 vcc, v[2:3], v[0:1]
	s_orn2_b64 s[20:21], vcc, exec
	s_branch .LBB4_1026
.LBB4_1031:
	s_or_b64 exec, exec, s[10:11]
	s_and_saveexec_b64 s[10:11], s[12:13]
	s_xor_b64 s[10:11], exec, s[10:11]
	s_cbranch_execz .LBB4_1033
; %bb.1032:
	v_mov_b32_e32 v0, 1
	ds_write_b32 v0, v0
	s_trap 2
.LBB4_1033:
	s_or_b64 exec, exec, s[6:7]
	;;#ASMSTART
	s_wakeup
	;;#ASMEND
.LBB4_1034:
	s_or_b64 exec, exec, s[4:5]
.LBB4_1035:
	s_andn2_saveexec_b64 s[0:1], s[0:1]
	s_cbranch_execz .LBB4_1037
; %bb.1036:
	s_waitcnt lgkmcnt(0)
	s_barrier
.LBB4_1037:
	s_or_b64 exec, exec, s[2:3]
.LBB4_1038:
	s_andn2_saveexec_b64 s[22:23], s[56:57]
	s_cbranch_execz .LBB4_1040
; %bb.1039:
	s_getpc_b64 s[0:1]
	s_add_u32 s0, s0, __PRETTY_FUNCTION__._ZN10PrimitivesIa7FuncSumIaE12FanSymmetricILi1EELi0E11ProtoSimpleILi1ELi1ELi0ELi1ELi0ELi0EELi0ELb0ELi0ELi0ELi0EEC2EiiPKiS8_PKvPvmhhhP15ncclDevWorkCollP14ncclDevWorkP2pii@rel32@lo+4
	s_addc_u32 s1, s1, __PRETTY_FUNCTION__._ZN10PrimitivesIa7FuncSumIaE12FanSymmetricILi1EELi0E11ProtoSimpleILi1ELi1ELi0ELi1ELi0ELi0EELi0ELb0ELi0ELi0ELi0EEC2EiiPKiS8_PKvPvmhhhP15ncclDevWorkCollP14ncclDevWorkP2pii@rel32@hi+12
	s_getpc_b64 s[2:3]
	s_add_u32 s2, s2, __assert_fail@rel32@lo+4
	s_addc_u32 s3, s3, __assert_fail@rel32@hi+12
	v_mov_b32_e32 v0, s0
	v_mov_b32_e32 v1, s1
	s_swappc_b64 s[30:31], s[2:3]
	; divergent unreachable
.LBB4_1040:
	s_or_b64 exec, exec, s[22:23]
.LBB4_1041:
	s_or_b64 exec, exec, s[46:47]
	scratch_load_dword v60, off, s33        ; 4-byte Folded Reload
	scratch_load_dword v59, off, s33 offset:4 ; 4-byte Folded Reload
	scratch_load_dword v58, off, s33 offset:8 ; 4-byte Folded Reload
	;; [unrolled: 1-line block ×12, first 2 shown]
	v_readlane_b32 s30, v61, 22
	v_readlane_b32 s31, v61, 23
	;; [unrolled: 1-line block ×24, first 2 shown]
	s_mov_b32 s32, s33
	v_readlane_b32 s0, v61, 24
	s_or_saveexec_b64 s[2:3], -1
	scratch_load_dword v61, off, s33 offset:52 ; 4-byte Folded Reload
	s_mov_b64 exec, s[2:3]
	s_mov_b32 s33, s0
	s_waitcnt vmcnt(0) lgkmcnt(0)
	s_setpc_b64 s[30:31]
.Lfunc_end4:
	.size	_ZN12_GLOBAL__N_17runRingIa7FuncSumIaE11ProtoSimpleILi1ELi1ELi0ELi1ELi0ELi0EELi0ELi1ELi0EEEviiP15ncclDevWorkColl, .Lfunc_end4-_ZN12_GLOBAL__N_17runRingIa7FuncSumIaE11ProtoSimpleILi1ELi1ELi0ELi1ELi0ELi0EELi0ELi1ELi0EEEviiP15ncclDevWorkColl
                                        ; -- End function
	.set .L_ZN12_GLOBAL__N_17runRingIa7FuncSumIaE11ProtoSimpleILi1ELi1ELi0ELi1ELi0ELi0EELi0ELi1ELi0EEEviiP15ncclDevWorkColl.num_vgpr, max(120, .L__assert_fail.num_vgpr)
	.set .L_ZN12_GLOBAL__N_17runRingIa7FuncSumIaE11ProtoSimpleILi1ELi1ELi0ELi1ELi0ELi0EELi0ELi1ELi0EEEviiP15ncclDevWorkColl.num_agpr, max(0, .L__assert_fail.num_agpr)
	.set .L_ZN12_GLOBAL__N_17runRingIa7FuncSumIaE11ProtoSimpleILi1ELi1ELi0ELi1ELi0ELi0EELi0ELi1ELi0EEEviiP15ncclDevWorkColl.numbered_sgpr, max(96, .L__assert_fail.numbered_sgpr)
	.set .L_ZN12_GLOBAL__N_17runRingIa7FuncSumIaE11ProtoSimpleILi1ELi1ELi0ELi1ELi0ELi0EELi0ELi1ELi0EEEviiP15ncclDevWorkColl.num_named_barrier, max(0, .L__assert_fail.num_named_barrier)
	.set .L_ZN12_GLOBAL__N_17runRingIa7FuncSumIaE11ProtoSimpleILi1ELi1ELi0ELi1ELi0ELi0EELi0ELi1ELi0EEEviiP15ncclDevWorkColl.private_seg_size, 64+max(.L__assert_fail.private_seg_size)
	.set .L_ZN12_GLOBAL__N_17runRingIa7FuncSumIaE11ProtoSimpleILi1ELi1ELi0ELi1ELi0ELi0EELi0ELi1ELi0EEEviiP15ncclDevWorkColl.uses_vcc, or(1, .L__assert_fail.uses_vcc)
	.set .L_ZN12_GLOBAL__N_17runRingIa7FuncSumIaE11ProtoSimpleILi1ELi1ELi0ELi1ELi0ELi0EELi0ELi1ELi0EEEviiP15ncclDevWorkColl.uses_flat_scratch, or(0, .L__assert_fail.uses_flat_scratch)
	.set .L_ZN12_GLOBAL__N_17runRingIa7FuncSumIaE11ProtoSimpleILi1ELi1ELi0ELi1ELi0ELi0EELi0ELi1ELi0EEEviiP15ncclDevWorkColl.has_dyn_sized_stack, or(0, .L__assert_fail.has_dyn_sized_stack)
	.set .L_ZN12_GLOBAL__N_17runRingIa7FuncSumIaE11ProtoSimpleILi1ELi1ELi0ELi1ELi0ELi0EELi0ELi1ELi0EEEviiP15ncclDevWorkColl.has_recursion, or(1, .L__assert_fail.has_recursion)
	.set .L_ZN12_GLOBAL__N_17runRingIa7FuncSumIaE11ProtoSimpleILi1ELi1ELi0ELi1ELi0ELi0EELi0ELi1ELi0EEEviiP15ncclDevWorkColl.has_indirect_call, or(0, .L__assert_fail.has_indirect_call)
	.section	.AMDGPU.csdata,"",@progbits
; Function info:
; codeLenInByte = 29100
; TotalNumSgprs: 102
; NumVgprs: 120
; NumAgprs: 0
; TotalNumVgprs: 120
; ScratchSize: 128
; MemoryBound: 1
	.text
	.p2align	2                               ; -- Begin function _Z46ncclDevFunc_Broadcast_RING_SIMPLE_Sum_i8_0_0_1v
	.type	_Z46ncclDevFunc_Broadcast_RING_SIMPLE_Sum_i8_0_0_1v,@function
_Z46ncclDevFunc_Broadcast_RING_SIMPLE_Sum_i8_0_0_1v: ; @_Z46ncclDevFunc_Broadcast_RING_SIMPLE_Sum_i8_0_0_1v
; %bb.0:
	s_waitcnt vmcnt(0) expcnt(0) lgkmcnt(0)
	s_mov_b32 s0, s33
	s_mov_b32 s33, s32
	s_or_saveexec_b64 s[2:3], -1
	scratch_store_dword off, v43, s33 offset:16 ; 4-byte Folded Spill
	s_mov_b64 exec, s[2:3]
	v_writelane_b32 v43, s0, 30
	s_add_i32 s32, s32, 32
	scratch_store_dword off, v40, s33 offset:12 ; 4-byte Folded Spill
	scratch_store_dword off, v41, s33 offset:8 ; 4-byte Folded Spill
	;; [unrolled: 1-line block ×3, first 2 shown]
	scratch_store_dword off, v61, s33       ; 4-byte Folded Spill
	v_writelane_b32 v43, s34, 0
	v_writelane_b32 v43, s35, 1
	;; [unrolled: 1-line block ×29, first 2 shown]
	s_nop 1
	v_writelane_b32 v43, s31, 29
	s_trap 2
	ds_read_b32 v0, v0
	v_mov_b32_e32 v40, v31
	s_mov_b32 s82, s12
	s_mov_b64 s[80:81], s[8:9]
	s_waitcnt lgkmcnt(0)
	v_cmp_gt_i32_e32 vcc, 1, v0
	s_cbranch_vccnz .LBB5_8
; %bb.1:
	s_mov_b32 s83, 0
	v_and_b32_e32 v41, 0x3ff, v40
	v_mov_b32_e32 v42, 6
	s_branch .LBB5_3
.LBB5_2:                                ;   in Loop: Header=BB5_3 Depth=1
	s_or_b64 exec, exec, s[84:85]
	s_trap 2
	ds_read_b32 v0, v0
	s_add_i32 s83, s83, 1
	s_waitcnt lgkmcnt(0)
	v_cmp_lt_i32_e32 vcc, s83, v0
	s_cbranch_vccz .LBB5_8
.LBB5_3:                                ; =>This Inner Loop Header: Depth=1
	s_trap 2
	ds_read_b32 v0, v0
	s_cmp_eq_u32 s83, 0
	s_cbranch_scc1 .LBB5_6
; %bb.4:                                ;   in Loop: Header=BB5_3 Depth=1
	s_trap 2
	s_waitcnt lgkmcnt(0)
	ds_read_b32 v1, v0
	s_waitcnt lgkmcnt(0)
	v_xor_b32_e32 v1, v1, v0
	v_and_b32_e32 v1, 0xff0000, v1
	v_cmp_eq_u32_e32 vcc, 0, v1
	s_cbranch_vccnz .LBB5_6
; %bb.5:                                ;   in Loop: Header=BB5_3 Depth=1
	s_barrier
	ds_read_b32 v0, v0
.LBB5_6:                                ;   in Loop: Header=BB5_3 Depth=1
	s_waitcnt lgkmcnt(0)
	v_lshlrev_b32_sdwa v1, v42, v0 dst_sel:DWORD dst_unused:UNUSED_PAD src0_sel:DWORD src1_sel:BYTE_2
	v_cmp_lt_u32_e32 vcc, v41, v1
	s_and_saveexec_b64 s[84:85], vcc
	s_cbranch_execz .LBB5_2
; %bb.7:                                ;   in Loop: Header=BB5_3 Depth=1
	s_mov_b64 s[0:1], src_shared_base
	s_getpc_b64 s[2:3]
	s_add_u32 s2, s2, _ZN12_GLOBAL__N_17runRingIa7FuncSumIaE11ProtoSimpleILi1ELi1ELi0ELi1ELi0ELi0EELi0ELi1ELi0EEEviiP15ncclDevWorkColl@rel32@lo+4
	s_addc_u32 s3, s3, _ZN12_GLOBAL__N_17runRingIa7FuncSumIaE11ProtoSimpleILi1ELi1ELi0ELi1ELi0ELi0EELi0ELi1ELi0EEEviiP15ncclDevWorkColl@rel32@hi+12
	s_mov_b64 s[8:9], s[80:81]
	s_mov_b32 s12, s82
	v_mov_b32_e32 v31, v40
	v_mov_b32_e32 v0, v41
	;; [unrolled: 1-line block ×3, first 2 shown]
	s_swappc_b64 s[30:31], s[2:3]
	s_branch .LBB5_2
.LBB5_8:
	scratch_load_dword v61, off, s33        ; 4-byte Folded Reload
	scratch_load_dword v42, off, s33 offset:4 ; 4-byte Folded Reload
	scratch_load_dword v41, off, s33 offset:8 ; 4-byte Folded Reload
	;; [unrolled: 1-line block ×3, first 2 shown]
	v_readlane_b32 s30, v43, 28
	v_readlane_b32 s31, v43, 29
	;; [unrolled: 1-line block ×30, first 2 shown]
	s_mov_b32 s32, s33
	v_readlane_b32 s0, v43, 30
	s_or_saveexec_b64 s[2:3], -1
	scratch_load_dword v43, off, s33 offset:16 ; 4-byte Folded Reload
	s_mov_b64 exec, s[2:3]
	s_mov_b32 s33, s0
	s_waitcnt vmcnt(0)
	s_setpc_b64 s[30:31]
.Lfunc_end5:
	.size	_Z46ncclDevFunc_Broadcast_RING_SIMPLE_Sum_i8_0_0_1v, .Lfunc_end5-_Z46ncclDevFunc_Broadcast_RING_SIMPLE_Sum_i8_0_0_1v
                                        ; -- End function
	.set .L_Z46ncclDevFunc_Broadcast_RING_SIMPLE_Sum_i8_0_0_1v.num_vgpr, max(62, .L_ZN12_GLOBAL__N_17runRingIa7FuncSumIaE11ProtoSimpleILi1ELi1ELi0ELi1ELi0ELi0EELi0ELi1ELi0EEEviiP15ncclDevWorkColl.num_vgpr)
	.set .L_Z46ncclDevFunc_Broadcast_RING_SIMPLE_Sum_i8_0_0_1v.num_agpr, max(0, .L_ZN12_GLOBAL__N_17runRingIa7FuncSumIaE11ProtoSimpleILi1ELi1ELi0ELi1ELi0ELi0EELi0ELi1ELi0EEEviiP15ncclDevWorkColl.num_agpr)
	.set .L_Z46ncclDevFunc_Broadcast_RING_SIMPLE_Sum_i8_0_0_1v.numbered_sgpr, max(86, .L_ZN12_GLOBAL__N_17runRingIa7FuncSumIaE11ProtoSimpleILi1ELi1ELi0ELi1ELi0ELi0EELi0ELi1ELi0EEEviiP15ncclDevWorkColl.numbered_sgpr)
	.set .L_Z46ncclDevFunc_Broadcast_RING_SIMPLE_Sum_i8_0_0_1v.num_named_barrier, max(0, .L_ZN12_GLOBAL__N_17runRingIa7FuncSumIaE11ProtoSimpleILi1ELi1ELi0ELi1ELi0ELi0EELi0ELi1ELi0EEEviiP15ncclDevWorkColl.num_named_barrier)
	.set .L_Z46ncclDevFunc_Broadcast_RING_SIMPLE_Sum_i8_0_0_1v.private_seg_size, 32+max(.L_ZN12_GLOBAL__N_17runRingIa7FuncSumIaE11ProtoSimpleILi1ELi1ELi0ELi1ELi0ELi0EELi0ELi1ELi0EEEviiP15ncclDevWorkColl.private_seg_size)
	.set .L_Z46ncclDevFunc_Broadcast_RING_SIMPLE_Sum_i8_0_0_1v.uses_vcc, or(1, .L_ZN12_GLOBAL__N_17runRingIa7FuncSumIaE11ProtoSimpleILi1ELi1ELi0ELi1ELi0ELi0EELi0ELi1ELi0EEEviiP15ncclDevWorkColl.uses_vcc)
	.set .L_Z46ncclDevFunc_Broadcast_RING_SIMPLE_Sum_i8_0_0_1v.uses_flat_scratch, or(0, .L_ZN12_GLOBAL__N_17runRingIa7FuncSumIaE11ProtoSimpleILi1ELi1ELi0ELi1ELi0ELi0EELi0ELi1ELi0EEEviiP15ncclDevWorkColl.uses_flat_scratch)
	.set .L_Z46ncclDevFunc_Broadcast_RING_SIMPLE_Sum_i8_0_0_1v.has_dyn_sized_stack, or(0, .L_ZN12_GLOBAL__N_17runRingIa7FuncSumIaE11ProtoSimpleILi1ELi1ELi0ELi1ELi0ELi0EELi0ELi1ELi0EEEviiP15ncclDevWorkColl.has_dyn_sized_stack)
	.set .L_Z46ncclDevFunc_Broadcast_RING_SIMPLE_Sum_i8_0_0_1v.has_recursion, or(1, .L_ZN12_GLOBAL__N_17runRingIa7FuncSumIaE11ProtoSimpleILi1ELi1ELi0ELi1ELi0ELi0EELi0ELi1ELi0EEEviiP15ncclDevWorkColl.has_recursion)
	.set .L_Z46ncclDevFunc_Broadcast_RING_SIMPLE_Sum_i8_0_0_1v.has_indirect_call, or(0, .L_ZN12_GLOBAL__N_17runRingIa7FuncSumIaE11ProtoSimpleILi1ELi1ELi0ELi1ELi0ELi0EELi0ELi1ELi0EEEviiP15ncclDevWorkColl.has_indirect_call)
	.section	.AMDGPU.csdata,"",@progbits
; Function info:
; codeLenInByte = 864
; TotalNumSgprs: 102
; NumVgprs: 120
; NumAgprs: 0
; TotalNumVgprs: 120
; ScratchSize: 160
; MemoryBound: 0
	.text
	.p2align	2                               ; -- Begin function _ZN12_GLOBAL__N_17runRingIa7FuncSumIaE7ProtoLLLi0ELi2ELi0EEEviiP15ncclDevWorkColl
	.type	_ZN12_GLOBAL__N_17runRingIa7FuncSumIaE7ProtoLLLi0ELi2ELi0EEEviiP15ncclDevWorkColl,@function
_ZN12_GLOBAL__N_17runRingIa7FuncSumIaE7ProtoLLLi0ELi2ELi0EEEviiP15ncclDevWorkColl: ; @_ZN12_GLOBAL__N_17runRingIa7FuncSumIaE7ProtoLLLi0ELi2ELi0EEEviiP15ncclDevWorkColl
; %bb.0:
	s_waitcnt vmcnt(0) expcnt(0) lgkmcnt(0)
	scratch_store_dword off, v40, s32 offset:4 ; 4-byte Folded Spill
	scratch_store_dword off, v41, s32       ; 4-byte Folded Spill
	s_trap 2
	ds_read_b64 v[4:5], v0
	flat_load_ushort v9, v[2:3] offset:8
	flat_load_dwordx2 v[16:17], v[2:3]
	ds_read_b32 v6, v0
                                        ; implicit-def: $vgpr48_vgpr49
                                        ; implicit-def: $vgpr14_vgpr15
	s_waitcnt lgkmcnt(0)
	flat_load_dwordx2 v[54:55], v[4:5]
                                        ; implicit-def: $vgpr4_vgpr5
	s_waitcnt vmcnt(0)
	v_mov_b32_e32 v8, v17
	v_cmp_ne_u32_sdwa s[0:1], v6, v16 src0_sel:DWORD src1_sel:BYTE_0
	s_and_saveexec_b64 s[2:3], s[0:1]
	s_xor_b64 s[0:1], exec, s[2:3]
	s_cbranch_execz .LBB6_6
; %bb.1:
	v_not_b32_sdwa v10, v16 dst_sel:DWORD dst_unused:UNUSED_PAD src0_sel:BYTE_0
	v_cmp_ne_u32_sdwa s[2:3], v6, v16 src0_sel:DWORD src1_sel:BYTE_1
                                        ; implicit-def: $vgpr48_vgpr49
                                        ; implicit-def: $vgpr4_vgpr5
                                        ; implicit-def: $vgpr14_vgpr15
	s_and_saveexec_b64 s[4:5], s[2:3]
	s_xor_b64 s[2:3], exec, s[4:5]
	s_cbranch_execz .LBB6_3
; %bb.2:
	flat_load_dwordx4 v[18:21], v[2:3] offset:72
	flat_load_dwordx2 v[4:5], v[2:3] offset:96
	v_add_u32_e32 v6, v6, v10
	v_ashrrev_i32_e32 v7, 31, v6
                                        ; implicit-def: $vgpr10
	s_waitcnt vmcnt(0) lgkmcnt(0)
	v_mul_lo_u32 v7, v20, v7
	v_mad_u64_u32 v[14:15], s[4:5], v20, v6, v[18:19]
	v_mul_lo_u32 v6, v21, v6
	v_lshrrev_b64 v[48:49], 21, v[4:5]
	v_add3_u32 v15, v6, v15, v7
	v_mov_b64_e32 v[4:5], v[20:21]
.LBB6_3:
	s_andn2_saveexec_b64 s[2:3], s[2:3]
	s_cbranch_execz .LBB6_5
; %bb.4:
	flat_load_dwordx4 v[18:21], v[2:3] offset:72
	flat_load_dwordx4 v[4:7], v[2:3] offset:88
	s_waitcnt vmcnt(0) lgkmcnt(0)
	v_add_u32_sdwa v6, v16, v10 dst_sel:DWORD dst_unused:UNUSED_PAD src0_sel:BYTE_1 src1_sel:DWORD
	v_ashrrev_i32_e32 v10, 31, v6
	v_mul_lo_u32 v10, v20, v10
	v_mad_u64_u32 v[14:15], s[4:5], v20, v6, v[18:19]
	v_mul_lo_u32 v6, v21, v6
	v_add3_u32 v15, v6, v15, v10
	v_lshrrev_b32_e32 v48, 10, v7
.LBB6_5:
	s_or_b64 exec, exec, s[2:3]
.LBB6_6:
	s_andn2_saveexec_b64 s[0:1], s[0:1]
	s_cbranch_execz .LBB6_8
; %bb.7:
	flat_load_dwordx2 v[4:5], v[2:3] offset:72
	flat_load_dwordx2 v[48:49], v[2:3] offset:96
	v_mov_b64_e32 v[14:15], 0
.LBB6_8:
	s_or_b64 exec, exec, s[0:1]
	flat_load_dwordx4 v[10:13], v[2:3] offset:16
	s_brev_b32 s0, 34
	v_and_b32_e32 v2, 0x44000000, v16
	v_cmp_eq_u32_e64 s[16:17], s0, v2
	v_bfe_u32 v3, v8, 1, 30
	s_nop 0
	v_cndmask_b32_e64 v2, v1, 64, s[16:17]
	v_cmp_ge_i32_e32 vcc, v0, v2
	s_and_saveexec_b64 s[0:1], vcc
	s_xor_b64 s[2:3], exec, s[0:1]
	s_cbranch_execnz .LBB6_11
; %bb.9:
	s_andn2_saveexec_b64 s[18:19], s[2:3]
	s_cbranch_execnz .LBB6_40
.LBB6_10:
	s_or_b64 exec, exec, s[18:19]
	scratch_load_dword v41, off, s32        ; 4-byte Folded Reload
	scratch_load_dword v40, off, s32 offset:4 ; 4-byte Folded Reload
	s_waitcnt vmcnt(0) lgkmcnt(0)
	s_setpc_b64 s[30:31]
.LBB6_11:
	s_waitcnt vmcnt(0) lgkmcnt(0)
	v_cmp_ne_u64_e32 vcc, v[12:13], v[10:11]
	v_cmp_eq_u32_e64 s[0:1], v54, v3
	s_and_b64 s[4:5], vcc, s[0:1]
	s_and_saveexec_b64 s[0:1], s[4:5]
	s_cbranch_execz .LBB6_39
; %bb.12:
	v_sub_u32_e32 v25, v0, v2
	v_ashrrev_i16_e32 v0, 15, v25
	v_lshrrev_b16_e32 v0, 10, v0
	v_add_u16_e32 v0, v25, v0
	v_and_b32_e32 v3, 0xffffffc0, v0
	v_sub_u16_e32 v22, v25, v3
	v_lshl_add_u64 v[8:9], v[12:13], 0, v[14:15]
	v_lshl_add_u64 v[16:17], v[10:11], 0, v[14:15]
	v_cmp_gt_i16_e32 vcc, 1, v22
	s_mov_b64 s[4:5], 0
	s_and_saveexec_b64 s[6:7], vcc
; %bb.13:
	v_bitop3_b32 v3, v8, 15, v16 bitop3:0xc8
	v_cmp_ne_u32_e32 vcc, 0, v3
	s_and_b64 s[4:5], vcc, exec
; %bb.14:
	s_or_b64 exec, exec, s[6:7]
	v_sub_u32_e32 v24, v1, v2
	v_cndmask_b32_e64 v1, 0, 1, s[4:5]
	v_cmp_ne_u32_e32 vcc, 0, v1
	s_cbranch_vccz .LBB6_16
; %bb.15:
	s_mov_b64 s[6:7], -1
	v_mov_b64_e32 v[0:1], 0
	s_and_b64 exec, exec, s[6:7]
	s_cbranch_execnz .LBB6_31
	s_branch .LBB6_39
.LBB6_16:
	v_ashrrev_i16_e32 v2, 6, v0
	v_ashrrev_i32_e32 v0, 31, v5
	v_lshrrev_b32_e32 v0, 20, v0
	v_mov_b32_e32 v1, 0
	v_lshl_add_u64 v[0:1], v[4:5], 0, v[0:1]
	v_ashrrev_i64 v[0:1], 12, v[0:1]
	v_bfe_i32 v2, v2, 0, 16
	v_ashrrev_i32_e32 v3, 31, v2
	v_sub_co_u32_e32 v6, vcc, v0, v2
	s_mov_b64 s[6:7], 0
	s_nop 0
	v_subb_co_u32_e32 v7, vcc, v1, v3, vcc
	v_cmp_lt_i64_e32 vcc, 0, v[6:7]
	s_and_saveexec_b64 s[4:5], vcc
	s_cbranch_execz .LBB6_20
; %bb.17:
	v_ashrrev_i16_e32 v18, 15, v24
	v_lshrrev_b16_e32 v18, 10, v18
	v_mov_b32_e32 v3, 4
	v_add_u16_e32 v18, v24, v18
	v_lshlrev_b32_sdwa v3, v3, sext(v22) dst_sel:DWORD dst_unused:UNUSED_PAD src0_sel:DWORD src1_sel:WORD_0
	v_ashrrev_i16_e32 v19, 6, v18
	v_mov_b32_e32 v20, 12
	v_lshl_add_u32 v2, v2, 12, v3
	v_bfe_i32 v18, v19, 0, 16
	v_lshlrev_b32_sdwa v20, v20, sext(v19) dst_sel:DWORD dst_unused:UNUSED_PAD src0_sel:DWORD src1_sel:WORD_0
	v_ashrrev_i32_e32 v3, 31, v2
	v_ashrrev_i32_e32 v19, 31, v18
	;; [unrolled: 1-line block ×3, first 2 shown]
.LBB6_18:                               ; =>This Inner Loop Header: Depth=1
	v_lshl_add_u64 v[38:39], v[2:3], 0, v[8:9]
	global_load_dwordx4 v[26:29], v[38:39], off nt
	global_load_dwordx4 v[30:33], v[38:39], off offset:1024 nt
	global_load_dwordx4 v[34:37], v[38:39], off offset:2048 nt
	;; [unrolled: 1-line block ×3, first 2 shown]
	v_sub_co_u32_e32 v6, vcc, v6, v18
	v_lshl_add_u64 v[38:39], v[2:3], 0, v[16:17]
	s_nop 0
	v_subb_co_u32_e32 v7, vcc, v7, v19, vcc
	v_cmp_gt_i64_e32 vcc, 1, v[6:7]
	v_lshl_add_u64 v[8:9], v[8:9], 0, v[20:21]
	v_lshl_add_u64 v[16:17], v[16:17], 0, v[20:21]
	s_or_b64 s[6:7], vcc, s[6:7]
	s_waitcnt vmcnt(3)
	global_store_dwordx4 v[38:39], v[26:29], off
	s_waitcnt vmcnt(3)
	global_store_dwordx4 v[38:39], v[30:33], off offset:1024
	s_waitcnt vmcnt(3)
	global_store_dwordx4 v[38:39], v[34:37], off offset:2048
	;; [unrolled: 2-line block ×3, first 2 shown]
	s_andn2_b64 exec, exec, s[6:7]
	s_cbranch_execnz .LBB6_18
; %bb.19:
	s_or_b64 exec, exec, s[6:7]
.LBB6_20:
	s_or_b64 exec, exec, s[4:5]
	v_lshlrev_b64 v[8:9], 12, v[0:1]
	v_cmp_ne_u64_e32 vcc, v[4:5], v[8:9]
	s_mov_b64 s[6:7], 0
	v_mov_b64_e32 v[0:1], 0
                                        ; implicit-def: $vgpr2_vgpr3
                                        ; implicit-def: $vgpr25
	s_and_saveexec_b64 s[4:5], vcc
	s_cbranch_execz .LBB6_30
; %bb.21:
	v_sub_co_u32_e32 v16, vcc, v4, v8
	v_mov_b32_e32 v21, 0
	s_nop 0
	v_subb_co_u32_e32 v17, vcc, v5, v9, vcc
	v_ashrrev_i32_e32 v0, 31, v17
	v_lshrrev_b32_e32 v20, 22, v0
	v_lshl_add_u64 v[2:3], v[16:17], 0, v[20:21]
	v_ashrrev_i64 v[18:19], 10, v[2:3]
	v_and_b32_e32 v2, 0xfffffc00, v2
	v_lshl_add_u64 v[0:1], v[2:3], 0, v[8:9]
	v_sub_co_u32_e32 v2, vcc, v16, v2
	s_nop 1
	v_subb_co_u32_e32 v3, vcc, v17, v3, vcc
	v_cmp_lt_i64_e32 vcc, 15, v[2:3]
	s_and_saveexec_b64 s[6:7], vcc
; %bb.22:
	v_and_b32_e32 v20, 15, v4
	v_sub_co_u32_e32 v2, vcc, v2, v20
	v_lshl_add_u64 v[18:19], v[18:19], 0, 1
	s_nop 0
	v_subbrev_co_u32_e32 v3, vcc, 0, v3, vcc
	v_lshl_add_u64 v[0:1], v[2:3], 0, v[0:1]
	v_mov_b64_e32 v[2:3], v[20:21]
; %bb.23:
	s_or_b64 exec, exec, s[6:7]
	v_lshlrev_b32_e32 v4, 6, v6
	v_sub_u32_sdwa v4, sext(v22), v4 dst_sel:DWORD dst_unused:UNUSED_PAD src0_sel:WORD_0 src1_sel:DWORD
	v_ashrrev_i32_e32 v5, 31, v4
	v_lshrrev_b32_e32 v5, 26, v5
	v_add_u32_e32 v5, v4, v5
	v_ashrrev_i32_e32 v23, 6, v5
	v_and_b32_e32 v5, 0xffffffc0, v5
	v_sub_u32_e32 v22, v4, v5
	v_lshlrev_b32_e32 v4, 4, v22
	v_lshl_add_u32 v20, v23, 10, v4
	v_ashrrev_i32_e32 v21, 31, v20
	v_sub_co_u32_e32 v6, vcc, v16, v20
	v_ashrrev_i32_e32 v5, 31, v23
	s_nop 0
	v_subb_co_u32_e32 v7, vcc, v17, v21, vcc
	v_sub_co_u32_e32 v4, vcc, v18, v23
	s_nop 1
	v_subb_co_u32_e32 v5, vcc, v19, v5, vcc
	v_cmp_lt_i64_e32 vcc, 15, v[6:7]
	s_and_saveexec_b64 s[6:7], vcc
	s_cbranch_execz .LBB6_27
; %bb.24:
	v_ashrrev_i16_e32 v16, 15, v24
	v_lshrrev_b16_e32 v16, 10, v16
	v_add_u16_e32 v16, v24, v16
	v_ashrrev_i16_e32 v17, 6, v16
	v_mov_b32_e32 v18, 10
	v_bfe_i32 v16, v17, 0, 16
	v_lshlrev_b32_sdwa v18, v18, sext(v17) dst_sel:DWORD dst_unused:UNUSED_PAD src0_sel:DWORD src1_sel:WORD_0
	v_lshl_add_u64 v[8:9], v[14:15], 0, v[8:9]
	v_ashrrev_i32_e32 v19, 31, v18
	v_ashrrev_i32_e32 v17, 31, v16
	v_lshl_add_u64 v[8:9], v[8:9], 0, v[20:21]
	s_mov_b64 s[10:11], 0
.LBB6_25:                               ; =>This Inner Loop Header: Depth=1
	v_lshl_add_u64 v[20:21], v[12:13], 0, v[8:9]
	global_load_dwordx4 v[26:29], v[20:21], off nt
	v_sub_co_u32_e32 v6, vcc, v6, v18
	v_lshl_add_u64 v[20:21], v[10:11], 0, v[8:9]
	s_nop 0
	v_subb_co_u32_e32 v7, vcc, v7, v19, vcc
	v_sub_co_u32_e32 v4, vcc, v4, v16
	v_lshl_add_u64 v[8:9], v[8:9], 0, v[18:19]
	s_nop 0
	v_subb_co_u32_e32 v5, vcc, v5, v17, vcc
	v_cmp_gt_i64_e32 vcc, 16, v[6:7]
	s_or_b64 s[10:11], vcc, s[10:11]
	s_waitcnt vmcnt(0)
	global_store_dwordx4 v[20:21], v[26:29], off
	s_andn2_b64 exec, exec, s[10:11]
	s_cbranch_execnz .LBB6_25
; %bb.26:
	s_or_b64 exec, exec, s[10:11]
.LBB6_27:
	s_or_b64 exec, exec, s[6:7]
	v_cmp_lt_i64_e32 vcc, 0, v[4:5]
	s_and_saveexec_b64 s[6:7], vcc
; %bb.28:
	v_ashrrev_i16_e32 v5, 15, v24
	v_lshrrev_b16_e32 v5, 10, v5
	v_add_u16_e32 v5, v24, v5
	v_ashrrev_i16_e32 v5, 6, v5
	v_bfe_i32 v5, v5, 0, 16
	v_sub_co_u32_e32 v4, vcc, v4, v5
; %bb.29:
	s_or_b64 exec, exec, s[6:7]
	v_lshlrev_b32_e32 v4, 6, v4
	v_cmp_ne_u64_e32 vcc, 0, v[2:3]
	v_sub_u32_e32 v25, v22, v4
	s_and_b64 s[6:7], vcc, exec
.LBB6_30:
	s_or_b64 exec, exec, s[4:5]
	v_mov_b64_e32 v[4:5], v[2:3]
	s_and_b64 exec, exec, s[6:7]
	s_cbranch_execz .LBB6_39
.LBB6_31:
	v_ashrrev_i32_e32 v2, 31, v25
	v_lshrrev_b32_e32 v2, 26, v2
	v_add_u32_e32 v8, v25, v2
	v_ashrrev_i32_e32 v2, 31, v5
	v_lshrrev_b32_e32 v2, 22, v2
	v_mov_b32_e32 v3, 0
	v_lshl_add_u64 v[2:3], v[4:5], 0, v[2:3]
	v_ashrrev_i32_e32 v26, 6, v8
	v_ashrrev_i64 v[6:7], 10, v[2:3]
	v_ashrrev_i32_e32 v3, 31, v26
	v_sub_co_u32_e32 v2, vcc, v6, v26
	s_mov_b64 s[6:7], 0
	s_nop 0
	v_subb_co_u32_e32 v3, vcc, v7, v3, vcc
	v_cmp_lt_i64_e32 vcc, 0, v[2:3]
	s_and_saveexec_b64 s[4:5], vcc
	s_cbranch_execz .LBB6_35
; %bb.32:
	v_ashrrev_i16_e32 v16, 15, v24
	v_lshrrev_b16_e32 v16, 10, v16
	v_and_b32_e32 v8, 0xffffffc0, v8
	v_add_u16_e32 v16, v24, v16
	v_sub_u32_e32 v8, v25, v8
	v_ashrrev_i16_e32 v17, 6, v16
	v_mov_b32_e32 v18, 10
	v_lshl_add_u32 v8, v26, 10, v8
	v_bfe_i32 v16, v17, 0, 16
	v_lshlrev_b32_sdwa v18, v18, sext(v17) dst_sel:DWORD dst_unused:UNUSED_PAD src0_sel:DWORD src1_sel:WORD_0
	v_lshl_add_u64 v[22:23], v[14:15], 0, v[0:1]
	v_ashrrev_i32_e32 v9, 31, v8
	v_ashrrev_i32_e32 v17, 31, v16
	;; [unrolled: 1-line block ×3, first 2 shown]
	v_lshl_add_u64 v[20:21], v[22:23], 0, v[12:13]
	v_lshl_add_u64 v[22:23], v[22:23], 0, v[10:11]
.LBB6_33:                               ; =>This Inner Loop Header: Depth=1
	v_lshl_add_u64 v[28:29], v[8:9], 0, v[20:21]
	flat_load_ubyte v27, v[28:29] nt
	flat_load_ubyte v30, v[28:29] offset:64 nt
	flat_load_ubyte v31, v[28:29] offset:128 nt
	;; [unrolled: 1-line block ×15, first 2 shown]
	v_sub_co_u32_e32 v2, vcc, v2, v16
	v_lshl_add_u64 v[28:29], v[8:9], 0, v[22:23]
	s_nop 0
	v_subb_co_u32_e32 v3, vcc, v3, v17, vcc
	v_cmp_gt_i64_e32 vcc, 1, v[2:3]
	v_lshl_add_u64 v[20:21], v[20:21], 0, v[18:19]
	v_lshl_add_u64 v[22:23], v[22:23], 0, v[18:19]
	s_or_b64 s[6:7], vcc, s[6:7]
	s_waitcnt vmcnt(0) lgkmcnt(0)
	flat_store_byte v[28:29], v27 nt
	flat_store_byte v[28:29], v30 offset:64 nt
	flat_store_byte v[28:29], v31 offset:128 nt
	;; [unrolled: 1-line block ×15, first 2 shown]
	s_andn2_b64 exec, exec, s[6:7]
	s_cbranch_execnz .LBB6_33
; %bb.34:
	s_or_b64 exec, exec, s[6:7]
.LBB6_35:
	s_or_b64 exec, exec, s[4:5]
	v_lshlrev_b64 v[6:7], 10, v[6:7]
	v_cmp_ne_u64_e32 vcc, v[4:5], v[6:7]
	s_and_b64 exec, exec, vcc
	s_cbranch_execz .LBB6_39
; %bb.36:
	v_lshlrev_b32_e32 v3, 6, v26
	v_sub_u32_e32 v3, v25, v3
	v_lshlrev_b32_e32 v2, 6, v2
	v_sub_u32_e32 v8, v3, v2
	v_ashrrev_i32_e32 v9, 31, v8
	v_lshl_add_u64 v[2:3], v[6:7], 0, v[8:9]
	v_sub_co_u32_e32 v2, vcc, v4, v2
	s_mov_b64 s[4:5], 0
	s_nop 0
	v_subb_co_u32_e32 v3, vcc, v5, v3, vcc
	v_cmp_lt_i64_e32 vcc, 0, v[2:3]
	s_and_b64 exec, exec, vcc
	s_cbranch_execz .LBB6_39
; %bb.37:
	v_ashrrev_i16_e32 v4, 15, v24
	v_lshrrev_b16_e32 v4, 10, v4
	v_add_u16_e32 v4, v24, v4
	v_ashrrev_i16_e32 v4, 6, v4
	v_mov_b32_e32 v5, 6
	v_lshl_add_u64 v[0:1], v[14:15], 0, v[0:1]
	v_lshlrev_b32_sdwa v4, v5, sext(v4) dst_sel:DWORD dst_unused:UNUSED_PAD src0_sel:DWORD src1_sel:WORD_0
	v_lshl_add_u64 v[0:1], v[0:1], 0, v[6:7]
	v_ashrrev_i32_e32 v5, 31, v4
	v_lshl_add_u64 v[0:1], v[0:1], 0, v[8:9]
.LBB6_38:                               ; =>This Inner Loop Header: Depth=1
	v_lshl_add_u64 v[6:7], v[12:13], 0, v[0:1]
	flat_load_ubyte v8, v[6:7] nt
	v_sub_co_u32_e32 v2, vcc, v2, v4
	v_lshl_add_u64 v[6:7], v[10:11], 0, v[0:1]
	s_nop 0
	v_subb_co_u32_e32 v3, vcc, v3, v5, vcc
	v_cmp_gt_i64_e32 vcc, 1, v[2:3]
	v_lshl_add_u64 v[0:1], v[0:1], 0, v[4:5]
	s_or_b64 s[4:5], vcc, s[4:5]
	s_waitcnt vmcnt(0) lgkmcnt(0)
	flat_store_byte v[6:7], v8 nt
	s_andn2_b64 exec, exec, s[4:5]
	s_cbranch_execnz .LBB6_38
.LBB6_39:
	s_or_b64 exec, exec, s[0:1]
                                        ; implicit-def: $vgpr54_vgpr55
                                        ; implicit-def: $vgpr14_vgpr15
                                        ; implicit-def: $vgpr4_vgpr5
                                        ; implicit-def: $vgpr48_vgpr49
                                        ; implicit-def: $vgpr3
                                        ; implicit-def: $vgpr2
                                        ; implicit-def: $vgpr0
                                        ; implicit-def: $vgpr31
                                        ; implicit-def: $vgpr12_vgpr13
                                        ; implicit-def: $vgpr8_vgpr9
	s_andn2_saveexec_b64 s[18:19], s[2:3]
	s_cbranch_execz .LBB6_10
.LBB6_40:
	s_load_dword s0, s[8:9], 0x0
	v_mov_b32_e32 v39, 0
	v_lshrrev_b64 v[6:7], 31, v[8:9]
	v_ashrrev_i32_e32 v1, 31, v0
	v_and_b32_e32 v24, 3, v6
	s_waitcnt lgkmcnt(0)
	s_cmp_lt_u32 s12, s0
	s_cselect_b32 s0, 12, 18
	s_add_u32 s0, s8, s0
	s_addc_u32 s1, s9, 0
	global_load_ushort v30, v39, s[0:1]
	s_trap 2
	ds_read_b32 v38, v0
	v_lshrrev_b32_e32 v6, 26, v1
	v_add_u32_e32 v6, v0, v6
	v_and_b32_e32 v6, 0xffffffc0, v6
	v_sub_u32_e32 v28, v0, v6
	s_waitcnt lgkmcnt(0)
	v_cmp_gt_i32_e32 vcc, 0, v38
	s_mov_b32 s2, 0
	v_mov_b64_e32 v[16:17], 0
	v_cmp_eq_u32_e64 s[0:1], 0, v28
	s_cbranch_vccnz .LBB6_42
; %bb.41:
	s_trap 2
	ds_read_b64 v[6:7], v0
	v_lshlrev_b64 v[8:9], 3, v[38:39]
	s_movk_i32 s2, 0xa8
	s_waitcnt lgkmcnt(0)
	v_lshl_add_u64 v[6:7], v[6:7], 0, v[8:9]
	flat_load_dwordx2 v[6:7], v[6:7]
	v_and_b32_e32 v8, 0xffff, v24
	s_waitcnt vmcnt(0) lgkmcnt(0)
	v_mad_u64_u32 v[6:7], s[2:3], v8, s2, v[6:7]
	flat_load_dwordx2 v[20:21], v[6:7] offset:504
	flat_load_dwordx2 v[22:23], v[6:7] offset:608
	s_mov_b64 s[2:3], 0x1f8
	v_lshl_add_u64 v[18:19], v[6:7], 0, s[2:3]
	v_cndmask_b32_e64 v9, 0, v19, s[0:1]
	v_cndmask_b32_e64 v8, 0, v18, s[0:1]
	s_mov_b32 s2, 1
	s_branch .LBB6_43
.LBB6_42:
	v_mov_b64_e32 v[18:19], 0
                                        ; implicit-def: $vgpr22_vgpr23
                                        ; implicit-def: $vgpr20_vgpr21
	v_mov_b64_e32 v[8:9], 0
.LBB6_43:
	s_trap 2
	ds_read_b32 v6, v0
	s_waitcnt lgkmcnt(0)
	v_cmp_gt_i32_e32 vcc, 0, v6
	s_cbranch_vccnz .LBB6_45
; %bb.44:
	s_trap 2
	ds_read_b64 v[16:17], v0
	v_mov_b32_e32 v7, 0
	v_lshlrev_b64 v[6:7], 3, v[6:7]
	s_movk_i32 s0, 0xa8
	v_cmp_eq_u32_e32 vcc, 0, v28
	s_waitcnt lgkmcnt(0)
	v_lshl_add_u64 v[6:7], v[16:17], 0, v[6:7]
	flat_load_dwordx2 v[6:7], v[6:7]
	v_and_b32_e32 v16, 0xffff, v24
	s_waitcnt vmcnt(0) lgkmcnt(0)
	v_mad_u64_u32 v[16:17], s[0:1], v16, s0, v[6:7]
	flat_load_dwordx2 v[24:25], v[16:17]
	flat_load_dwordx2 v[26:27], v[16:17] offset:104
	v_cndmask_b32_e32 v35, 0, v17, vcc
	v_cndmask_b32_e32 v34, 0, v16, vcc
	s_branch .LBB6_46
.LBB6_45:
                                        ; implicit-def: $vgpr26_vgpr27
                                        ; implicit-def: $vgpr24_vgpr25
	v_mov_b64_e32 v[34:35], 0
.LBB6_46:
	v_subrev_u32_e32 v6, 64, v2
	v_cmp_ge_i32_e32 vcc, v0, v6
	v_cmp_gt_i32_e64 s[0:1], s2, v28
	s_and_b64 s[20:21], vcc, s[0:1]
	v_mov_b64_e32 v[6:7], 0
	v_mov_b64_e32 v[32:33], 0
                                        ; implicit-def: $vgpr28_vgpr29
	s_and_saveexec_b64 s[0:1], s[20:21]
	s_cbranch_execz .LBB6_48
; %bb.47:
	flat_load_dwordx2 v[32:33], v[8:9] offset:56
	flat_load_dwordx2 v[28:29], v[8:9] offset:104
.LBB6_48:
	s_or_b64 exec, exec, s[0:1]
	v_cmp_gt_i32_e64 s[0:1], s2, v0
	v_mov_b64_e32 v[36:37], 0
                                        ; implicit-def: $vgpr52_vgpr53
	s_and_saveexec_b64 s[2:3], s[0:1]
	s_cbranch_execz .LBB6_50
; %bb.49:
	flat_load_dwordx2 v[36:37], v[34:35] offset:56
	s_waitcnt vmcnt(0) lgkmcnt(0)
	flat_load_dwordx2 v[52:53], v[36:37] sc0 sc1
	s_waitcnt vmcnt(0)
	flat_load_dwordx4 v[6:9], v[34:35] offset:96
.LBB6_50:
	s_or_b64 exec, exec, s[2:3]
	v_mov_b64_e32 v[34:35], 0
	s_waitcnt vmcnt(0)
	v_cmp_ne_u64_e32 vcc, 0, v[4:5]
	s_and_saveexec_b64 s[22:23], vcc
	s_cbranch_execnz .LBB6_54
; %bb.51:
	s_or_b64 exec, exec, s[22:23]
	s_and_saveexec_b64 s[2:3], s[20:21]
	s_cbranch_execnz .LBB6_327
.LBB6_52:
	s_or_b64 exec, exec, s[2:3]
	s_and_saveexec_b64 s[2:3], s[0:1]
	s_cbranch_execnz .LBB6_328
.LBB6_53:
	s_or_b64 exec, exec, s[2:3]
	v_cmp_ne_u32_e32 vcc, 64, v2
	s_and_saveexec_b64 s[0:1], vcc
	s_cbranch_execnz .LBB6_329
	s_branch .LBB6_346
.LBB6_54:
	v_ashrrev_i32_e32 v34, 31, v38
	v_lshrrev_b32_e32 v34, 29, v34
	v_add_u32_e32 v34, v38, v34
	v_ashrrev_i32_e32 v114, 7, v34
	v_lshlrev_b32_e32 v34, 4, v48
	v_and_b32_e32 v38, 0x1fffff0, v34
	v_cvt_f64_u32_e32 v[34:35], 0
	v_lshlrev_b32_e32 v64, 3, v0
	v_ldexp_f64 v[34:35], v[34:35], 32
	v_cvt_f64_u32_e32 v[50:51], v38
	v_ashrrev_i32_e32 v65, 31, v64
	v_mov_b32_e32 v49, 0
	v_add_f64 v[50:51], v[34:35], v[50:51]
	v_cmp_ne_u32_e64 s[2:3], v54, v3
	v_cmp_ne_u32_e64 s[4:5], v55, v3
	v_and_b32_e32 v3, 63, v31
	v_lshl_add_u64 v[34:35], v[14:15], 0, v[64:65]
	v_cmp_eq_u32_e64 s[12:13], 0, v3
	v_cmp_ne_u64_e32 vcc, v[12:13], v[10:11]
	s_xor_b64 s[16:17], s[16:17], -1
	v_mov_b32_e32 v3, v49
	v_lshl_add_u64 v[80:81], v[34:35], 0, v[12:13]
	v_and_b32_e32 v12, 0x1fffff, v48
	v_mov_b32_e32 v39, v49
	s_mov_b64 s[24:25], 0
	v_cmp_ne_u64_e64 s[6:7], 0, v[36:37]
	s_waitcnt lgkmcnt(0)
	v_cmp_ne_u64_e64 s[8:9], 0, v[6:7]
	v_cmp_ne_u32_e64 s[10:11], 64, v2
	v_cmp_ne_u32_sdwa s[26:27], v2, v30 src0_sel:DWORD src1_sel:WORD_0
	v_lshrrev_b32_e32 v54, 6, v2
	v_mov_b32_e32 v55, v49
	v_lshlrev_b32_e32 v66, 3, v2
	v_lshl_add_u64 v[68:69], v[10:11], 0, v[64:65]
	v_mov_b32_e32 v67, v49
	v_cmp_ne_u64_e64 s[14:15], 0, v[32:33]
	s_and_b64 s[28:29], s[16:17], vcc
	v_lshlrev_b64 v[70:71], 4, v[2:3]
	v_not_b32_e32 v3, v64
	v_lshlrev_b32_e32 v65, 3, v80
	v_lshlrev_b32_e32 v115, 7, v12
	;; [unrolled: 1-line block ×3, first 2 shown]
	v_lshl_add_u64 v[82:83], v[10:11], 0, v[34:35]
	v_lshl_add_u64 v[84:85], v[0:1], 4, v[24:25]
	v_mov_b64_e32 v[86:87], 0
	v_mov_b64_e32 v[34:35], 0
	s_mov_b64 s[40:41], 0x7ffffff8
	v_mov_b32_e32 v117, 1
	v_mov_b32_e32 v118, 0
	s_branch .LBB6_58
.LBB6_55:                               ;   in Loop: Header=BB6_58 Depth=1
	s_or_b64 exec, exec, s[16:17]
	v_lshl_add_u64 v[26:27], v[26:27], 0, 1
.LBB6_56:                               ;   in Loop: Header=BB6_58 Depth=1
	s_or_b64 exec, exec, s[44:45]
.LBB6_57:                               ;   in Loop: Header=BB6_58 Depth=1
	s_or_b64 exec, exec, s[42:43]
	v_lshl_add_u64 v[86:87], v[86:87], 0, v[38:39]
	v_cmp_ge_u64_e32 vcc, v[86:87], v[4:5]
	v_lshl_add_u64 v[80:81], v[80:81], 0, v[38:39]
	v_add_u32_e32 v65, v65, v115
	s_or_b64 s[24:25], vcc, s[24:25]
	v_lshl_add_u64 v[82:83], v[82:83], 0, v[38:39]
	s_andn2_b64 exec, exec, s[24:25]
	s_cbranch_execz .LBB6_326
.LBB6_58:                               ; =>This Loop Header: Depth=1
                                        ;     Child Loop BB6_65 Depth 2
                                        ;     Child Loop BB6_84 Depth 2
	;; [unrolled: 1-line block ×3, first 2 shown]
                                        ;       Child Loop BB6_128 Depth 3
                                        ;     Child Loop BB6_194 Depth 2
                                        ;     Child Loop BB6_101 Depth 2
                                        ;     Child Loop BB6_156 Depth 2
                                        ;       Child Loop BB6_160 Depth 3
                                        ;     Child Loop BB6_206 Depth 2
                                        ;     Child Loop BB6_116 Depth 2
	;; [unrolled: 1-line block ×9, first 2 shown]
	v_sub_co_u32_e32 v1, vcc, v4, v86
	s_waitcnt vmcnt(0)
	v_cvt_f64_u32_e32 v[12:13], v1
	v_subb_co_u32_e32 v10, vcc, v5, v87, vcc
	v_cvt_f64_u32_e32 v[10:11], v10
	v_ldexp_f64 v[10:11], v[10:11], 32
	v_add_f64 v[10:11], v[10:11], v[12:13]
	v_max_f64 v[12:13], v[50:51], v[50:51]
	v_min_f64 v[10:11], v[12:13], v[10:11]
	v_cvt_i32_f64_e32 v1, v[10:11]
	v_max_i32_e32 v1, 0, v1
	s_and_saveexec_b64 s[16:17], s[2:3]
	s_xor_b64 s[42:43], exec, s[16:17]
	s_cbranch_execz .LBB6_109
; %bb.59:                               ;   in Loop: Header=BB6_58 Depth=1
	v_lshl_add_u64 v[10:11], v[86:87], 0, v[14:15]
	s_and_saveexec_b64 s[16:17], s[4:5]
	s_xor_b64 s[44:45], exec, s[16:17]
	s_cbranch_execz .LBB6_103
; %bb.60:                               ;   in Loop: Header=BB6_58 Depth=1
	s_and_saveexec_b64 s[46:47], s[6:7]
	s_cbranch_execz .LBB6_76
; %bb.61:                               ;   in Loop: Header=BB6_58 Depth=1
	v_lshl_add_u64 v[12:13], v[8:9], 0, 1
	s_waitcnt lgkmcnt(0)
	v_lshl_add_u64 v[96:97], v[52:53], 0, 8
	v_cmp_lt_u64_e32 vcc, v[96:97], v[12:13]
	s_and_saveexec_b64 s[56:57], vcc
	s_cbranch_execz .LBB6_73
; %bb.62:                               ;   in Loop: Header=BB6_58 Depth=1
	s_mov_b32 s92, 0
	v_cmp_eq_u32_e32 vcc, 0, v118
	s_mov_b64 s[58:59], 0
                                        ; implicit-def: $sgpr60_sgpr61
                                        ; implicit-def: $sgpr62_sgpr63
                                        ; implicit-def: $sgpr72_sgpr73
	s_branch .LBB6_65
.LBB6_63:                               ;   in Loop: Header=BB6_65 Depth=2
	s_or_b64 exec, exec, s[90:91]
	s_andn2_b64 s[16:17], s[72:73], exec
	s_and_b64 s[72:73], s[78:79], exec
	s_or_b64 s[72:73], s[16:17], s[72:73]
	s_andn2_b64 s[16:17], s[62:63], exec
	s_and_b64 s[62:63], s[76:77], exec
	s_or_b64 s[62:63], s[16:17], s[62:63]
.LBB6_64:                               ;   in Loop: Header=BB6_65 Depth=2
	s_or_b64 exec, exec, s[74:75]
	s_and_b64 s[16:17], exec, s[62:63]
	s_or_b64 s[58:59], s[16:17], s[58:59]
	s_andn2_b64 s[16:17], s[60:61], exec
	s_and_b64 s[60:61], s[72:73], exec
	s_or_b64 s[60:61], s[16:17], s[60:61]
	s_andn2_b64 exec, exec, s[58:59]
	s_cbranch_execz .LBB6_70
.LBB6_65:                               ;   Parent Loop BB6_58 Depth=1
                                        ; =>  This Inner Loop Header: Depth=2
	s_sleep 1
	s_waitcnt vmcnt(0) lgkmcnt(0)
	flat_load_dwordx2 v[52:53], v[36:37] sc1
	v_mov_b32_e32 v118, 1
	s_or_b64 s[72:73], s[72:73], exec
	s_or_b64 s[62:63], s[62:63], exec
                                        ; implicit-def: $vgpr9
	s_and_saveexec_b64 s[74:75], vcc
	s_cbranch_execz .LBB6_64
; %bb.66:                               ;   in Loop: Header=BB6_65 Depth=2
	s_add_i32 s92, s92, 1
	s_cmpk_lg_i32 s92, 0x2710
	s_cselect_b64 s[88:89], -1, 0
	s_cmpk_eq_i32 s92, 0x2710
	s_mov_b64 s[76:77], -1
	s_mov_b64 s[78:79], -1
                                        ; implicit-def: $vgpr9
	s_cbranch_scc1 .LBB6_68
; %bb.67:                               ;   in Loop: Header=BB6_65 Depth=2
	v_mov_b32_e32 v118, 1
	s_and_saveexec_b64 s[90:91], s[88:89]
	s_cbranch_execz .LBB6_63
	s_branch .LBB6_69
.LBB6_68:                               ;   in Loop: Header=BB6_65 Depth=2
	s_trap 2
	ds_read_b64 v[96:97], v0
	s_andn2_b64 s[88:89], s[88:89], exec
	s_mov_b32 s92, 0
	s_mov_b64 s[78:79], 0
	s_waitcnt vmcnt(0) lgkmcnt(0)
	flat_load_dword v9, v[96:97] sc0 sc1
	s_waitcnt vmcnt(0) lgkmcnt(0)
	buffer_inv sc0 sc1
	v_cmp_eq_u32_e64 s[16:17], 0, v9
	s_and_b64 s[16:17], s[16:17], exec
	s_or_b64 s[88:89], s[88:89], s[16:17]
	v_mov_b32_e32 v118, 1
	s_and_saveexec_b64 s[90:91], s[88:89]
	s_cbranch_execz .LBB6_63
.LBB6_69:                               ;   in Loop: Header=BB6_65 Depth=2
	s_waitcnt vmcnt(0) lgkmcnt(0)
	v_lshl_add_u64 v[96:97], v[52:53], 0, 8
	v_cmp_ge_u64_e64 s[16:17], v[96:97], v[12:13]
	v_mov_b32_e32 v118, 0
	s_or_b64 s[78:79], s[78:79], exec
	s_orn2_b64 s[76:77], s[16:17], exec
	s_branch .LBB6_63
.LBB6_70:                               ;   in Loop: Header=BB6_58 Depth=1
	s_or_b64 exec, exec, s[58:59]
	s_xor_b64 s[16:17], s[60:61], -1
	s_and_saveexec_b64 s[58:59], s[16:17]
	s_xor_b64 s[16:17], exec, s[58:59]
	s_cbranch_execz .LBB6_72
; %bb.71:                               ;   in Loop: Header=BB6_58 Depth=1
	v_mov_b32_e32 v118, 1
	s_waitcnt lgkmcnt(0)
	ds_write_b32 v0, v9
	s_trap 2
.LBB6_72:                               ;   in Loop: Header=BB6_58 Depth=1
	s_or_b64 exec, exec, s[16:17]
.LBB6_73:                               ;   in Loop: Header=BB6_58 Depth=1
	s_or_b64 exec, exec, s[56:57]
	s_and_saveexec_b64 s[16:17], s[8:9]
	s_cbranch_execz .LBB6_75
; %bb.74:                               ;   in Loop: Header=BB6_58 Depth=1
	v_add_u32_e32 v9, 7, v1
	v_ashrrev_i32_e32 v48, 31, v9
	v_lshrrev_b32_e32 v48, 29, v48
	v_add_u32_e32 v9, v9, v48
	v_and_b32_e32 v48, 0x7ffffff8, v8
	v_lshrrev_b32_e32 v9, 3, v9
	v_cmp_eq_u64_e32 vcc, s[40:41], v[48:49]
	v_and_b32_e32 v8, 7, v8
	s_nop 0
	v_cndmask_b32_e32 v9, v9, v114, vcc
	v_lshlrev_b32_e32 v96, 4, v9
	v_ashrrev_i32_e32 v97, 31, v96
	v_mad_u64_u32 v[8:9], s[56:57], v8, 24, v[6:7]
	flat_store_dwordx2 v[8:9], v[96:97] offset:8 sc0 sc1
	s_waitcnt vmcnt(0)
.LBB6_75:                               ;   in Loop: Header=BB6_58 Depth=1
	s_or_b64 exec, exec, s[16:17]
	v_mov_b64_e32 v[8:9], v[12:13]
.LBB6_76:                               ;   in Loop: Header=BB6_58 Depth=1
	s_or_b64 exec, exec, s[46:47]
	s_and_saveexec_b64 s[16:17], s[10:11]
	s_cbranch_execz .LBB6_95
; %bb.77:                               ;   in Loop: Header=BB6_58 Depth=1
	s_and_saveexec_b64 s[46:47], s[26:27]
	s_xor_b64 s[46:47], exec, s[46:47]
	s_cbranch_execz .LBB6_92
; %bb.78:                               ;   in Loop: Header=BB6_58 Depth=1
	s_and_saveexec_b64 s[56:57], s[12:13]
	s_cbranch_execz .LBB6_91
; %bb.79:                               ;   in Loop: Header=BB6_58 Depth=1
	s_mov_b64 s[60:61], exec
	v_mbcnt_lo_u32_b32 v12, s60, 0
	v_mbcnt_hi_u32_b32 v12, s61, v12
	v_cmp_eq_u32_e32 vcc, 0, v12
	buffer_wbl2 sc1
	s_waitcnt vmcnt(0) lgkmcnt(0)
	buffer_inv sc1
	s_and_saveexec_b64 s[58:59], vcc
	s_cbranch_execz .LBB6_81
; %bb.80:                               ;   in Loop: Header=BB6_58 Depth=1
	s_bcnt1_i32_b64 s60, s[60:61]
	v_mov_b32_e32 v48, s60
	ds_add_u64 v0, v[48:49]
	s_trap 2
.LBB6_81:                               ;   in Loop: Header=BB6_58 Depth=1
	s_or_b64 exec, exec, s[58:59]
	s_trap 2
	ds_read_b64 v[12:13], v0
	s_waitcnt lgkmcnt(0)
	v_lshl_add_u64 v[34:35], v[34:35], 0, v[54:55]
	v_cmp_lt_u64_e32 vcc, v[12:13], v[34:35]
	s_and_saveexec_b64 s[58:59], vcc
	s_cbranch_execz .LBB6_90
; %bb.82:                               ;   in Loop: Header=BB6_58 Depth=1
	s_mov_b32 s88, 0
	s_mov_b64 s[60:61], 0
                                        ; implicit-def: $sgpr62_sgpr63
                                        ; implicit-def: $sgpr72_sgpr73
	s_branch .LBB6_84
.LBB6_83:                               ;   in Loop: Header=BB6_84 Depth=2
	s_or_b64 exec, exec, s[76:77]
	s_and_b64 s[74:75], exec, s[78:79]
	s_or_b64 s[60:61], s[74:75], s[60:61]
	s_andn2_b64 s[62:63], s[62:63], exec
	s_and_b64 s[74:75], s[72:73], exec
	s_or_b64 s[62:63], s[62:63], s[74:75]
	s_andn2_b64 exec, exec, s[60:61]
	s_cbranch_execz .LBB6_88
.LBB6_84:                               ;   Parent Loop BB6_58 Depth=1
                                        ; =>  This Inner Loop Header: Depth=2
	s_add_i32 s88, s88, 1
	s_cmpk_lg_i32 s88, 0x2710
	s_cselect_b64 s[74:75], -1, 0
	s_and_b64 vcc, exec, s[74:75]
	s_cbranch_vccz .LBB6_86
; %bb.85:                               ;   in Loop: Header=BB6_84 Depth=2
	s_mov_b64 s[78:79], -1
	s_or_b64 s[72:73], s[72:73], exec
	s_and_saveexec_b64 s[76:77], s[74:75]
	s_cbranch_execz .LBB6_83
	s_branch .LBB6_87
.LBB6_86:                               ;   in Loop: Header=BB6_84 Depth=2
	s_trap 2
	ds_read_b64 v[12:13], v0
	s_andn2_b64 s[74:75], s[74:75], exec
	s_mov_b32 s88, 0
	s_waitcnt lgkmcnt(0)
	flat_load_dword v12, v[12:13] sc0 sc1
	s_waitcnt vmcnt(0) lgkmcnt(0)
	buffer_inv sc0 sc1
	v_cmp_eq_u32_e32 vcc, 0, v12
	s_and_b64 s[76:77], vcc, exec
	s_or_b64 s[74:75], s[74:75], s[76:77]
	s_mov_b64 s[78:79], -1
	s_or_b64 s[72:73], s[72:73], exec
	s_and_saveexec_b64 s[76:77], s[74:75]
	s_cbranch_execz .LBB6_83
.LBB6_87:                               ;   in Loop: Header=BB6_84 Depth=2
	s_sleep 1
	s_trap 2
	ds_read_b64 v[12:13], v0
	s_waitcnt lgkmcnt(0)
	s_andn2_b64 s[72:73], s[72:73], exec
	v_cmp_ge_u64_e32 vcc, v[12:13], v[34:35]
	s_orn2_b64 s[78:79], vcc, exec
	s_branch .LBB6_83
.LBB6_88:                               ;   in Loop: Header=BB6_58 Depth=1
	s_or_b64 exec, exec, s[60:61]
	s_and_saveexec_b64 s[60:61], s[62:63]
	s_xor_b64 s[60:61], exec, s[60:61]
	s_cbranch_execz .LBB6_90
; %bb.89:                               ;   in Loop: Header=BB6_58 Depth=1
	ds_write_b32 v0, v117
	s_trap 2
.LBB6_90:                               ;   in Loop: Header=BB6_58 Depth=1
	s_or_b64 exec, exec, s[58:59]
	;;#ASMSTART
	s_wakeup
	;;#ASMEND
.LBB6_91:                               ;   in Loop: Header=BB6_58 Depth=1
	s_or_b64 exec, exec, s[56:57]
.LBB6_92:                               ;   in Loop: Header=BB6_58 Depth=1
	s_andn2_saveexec_b64 s[46:47], s[46:47]
	s_cbranch_execz .LBB6_94
; %bb.93:                               ;   in Loop: Header=BB6_58 Depth=1
	buffer_wbl2 sc1
	s_waitcnt vmcnt(0) lgkmcnt(0)
	buffer_inv sc1
	s_barrier
.LBB6_94:                               ;   in Loop: Header=BB6_58 Depth=1
	s_or_b64 exec, exec, s[46:47]
.LBB6_95:                               ;   in Loop: Header=BB6_58 Depth=1
	s_or_b64 exec, exec, s[16:17]
	v_sub_u32_e32 v48, v1, v64
	v_cmp_lt_i32_e32 vcc, 0, v48
	v_mov_b32_e32 v96, v0
	s_and_saveexec_b64 s[46:47], vcc
	s_cbranch_execnz .LBB6_122
; %bb.96:                               ;   in Loop: Header=BB6_58 Depth=1
	s_or_b64 exec, exec, s[46:47]
	s_and_saveexec_b64 s[16:17], s[10:11]
	s_cbranch_execnz .LBB6_187
.LBB6_97:                               ;   in Loop: Header=BB6_58 Depth=1
	s_or_b64 exec, exec, s[16:17]
	s_and_saveexec_b64 s[16:17], s[14:15]
	s_cbranch_execz .LBB6_99
.LBB6_98:                               ;   in Loop: Header=BB6_58 Depth=1
	v_lshl_add_u64 v[28:29], v[28:29], 0, 1
	flat_store_dwordx2 v[32:33], v[28:29] sc0 sc1
.LBB6_99:                               ;   in Loop: Header=BB6_58 Depth=1
	s_or_b64 exec, exec, s[16:17]
	v_and_b32_e32 v48, 0x7ffffff8, v26
	v_cmp_eq_u64_e32 vcc, s[40:41], v[48:49]
	v_cmp_lt_i32_e64 s[16:17], v96, v114
	s_and_b64 s[46:47], vcc, s[16:17]
	s_and_saveexec_b64 s[16:17], s[46:47]
	s_cbranch_execz .LBB6_102
; %bb.100:                              ;   in Loop: Header=BB6_58 Depth=1
	v_and_b32_e32 v1, 7, v26
	v_mul_lo_u32 v12, v1, v114
	v_ashrrev_i32_e32 v13, 31, v12
	v_ashrrev_i32_e32 v97, 31, v96
	v_lshlrev_b64 v[12:13], 4, v[12:13]
	v_lshl_add_u64 v[12:13], v[96:97], 4, v[12:13]
	v_add_u32_e32 v11, 1, v26
	v_mov_b32_e32 v10, v49
	v_lshl_add_u64 v[98:99], v[24:25], 0, v[12:13]
	s_mov_b64 s[46:47], 0
.LBB6_101:                              ;   Parent Loop BB6_58 Depth=1
                                        ; =>  This Inner Loop Header: Depth=2
	v_add_u32_e32 v96, v96, v2
	v_mov_b32_e32 v12, v10
	v_mov_b32_e32 v13, v11
	v_cmp_ge_i32_e32 vcc, v96, v114
	global_store_dwordx4 v[98:99], v[10:13], off
	s_or_b64 s[46:47], vcc, s[46:47]
	v_lshl_add_u64 v[98:99], v[98:99], 0, v[70:71]
	buffer_wbl2 sc0 sc1
	s_waitcnt vmcnt(0) lgkmcnt(0)
	s_andn2_b64 exec, exec, s[46:47]
	s_cbranch_execnz .LBB6_101
.LBB6_102:                              ;   in Loop: Header=BB6_58 Depth=1
	s_or_b64 exec, exec, s[16:17]
	v_lshl_add_u64 v[22:23], v[22:23], 0, 1
	v_lshl_add_u64 v[26:27], v[26:27], 0, 1
                                        ; implicit-def: $vgpr1
                                        ; implicit-def: $vgpr10_vgpr11
.LBB6_103:                              ;   in Loop: Header=BB6_58 Depth=1
	s_andn2_saveexec_b64 s[44:45], s[44:45]
	s_cbranch_execz .LBB6_121
; %bb.104:                              ;   in Loop: Header=BB6_58 Depth=1
	v_sub_u32_e32 v1, v1, v64
	v_cmp_lt_i32_e32 vcc, 0, v1
	s_and_saveexec_b64 s[46:47], vcc
	s_cbranch_execnz .LBB6_154
; %bb.105:                              ;   in Loop: Header=BB6_58 Depth=1
	s_or_b64 exec, exec, s[46:47]
	s_and_saveexec_b64 s[16:17], s[10:11]
	s_cbranch_execnz .LBB6_199
.LBB6_106:                              ;   in Loop: Header=BB6_58 Depth=1
	s_or_b64 exec, exec, s[16:17]
	s_and_saveexec_b64 s[16:17], s[14:15]
	s_cbranch_execz .LBB6_108
.LBB6_107:                              ;   in Loop: Header=BB6_58 Depth=1
	v_lshl_add_u64 v[28:29], v[28:29], 0, 1
	flat_store_dwordx2 v[32:33], v[28:29] sc0 sc1
.LBB6_108:                              ;   in Loop: Header=BB6_58 Depth=1
	s_or_b64 exec, exec, s[16:17]
	v_lshl_add_u64 v[22:23], v[22:23], 0, 1
	s_or_b64 exec, exec, s[44:45]
                                        ; implicit-def: $vgpr1
.LBB6_109:                              ;   in Loop: Header=BB6_58 Depth=1
	s_andn2_saveexec_b64 s[42:43], s[42:43]
	s_cbranch_execz .LBB6_57
.LBB6_110:                              ;   in Loop: Header=BB6_58 Depth=1
	s_waitcnt vmcnt(0)
	v_add_u32_e32 v10, 7, v1
	v_ashrrev_i32_e32 v11, 31, v10
	v_lshrrev_b32_e32 v11, 29, v11
	v_add_u32_e32 v10, v10, v11
	v_ashrrev_i32_e32 v12, 3, v10
	s_and_saveexec_b64 s[16:17], s[28:29]
	s_xor_b64 s[44:45], exec, s[16:17]
	s_cbranch_execz .LBB6_279
; %bb.111:                              ;   in Loop: Header=BB6_58 Depth=1
	s_and_saveexec_b64 s[46:47], s[6:7]
	s_cbranch_execz .LBB6_216
; %bb.112:                              ;   in Loop: Header=BB6_58 Depth=1
	v_lshl_add_u64 v[10:11], v[8:9], 0, 1
	s_waitcnt lgkmcnt(0)
	v_lshl_add_u64 v[96:97], v[52:53], 0, 8
	v_cmp_lt_u64_e32 vcc, v[96:97], v[10:11]
	s_and_saveexec_b64 s[56:57], vcc
	s_cbranch_execz .LBB6_213
; %bb.113:                              ;   in Loop: Header=BB6_58 Depth=1
	s_mov_b32 s92, 0
	v_cmp_eq_u32_e32 vcc, 0, v118
	s_mov_b64 s[58:59], 0
                                        ; implicit-def: $sgpr60_sgpr61
                                        ; implicit-def: $sgpr62_sgpr63
                                        ; implicit-def: $sgpr72_sgpr73
	s_branch .LBB6_116
.LBB6_114:                              ;   in Loop: Header=BB6_116 Depth=2
	s_or_b64 exec, exec, s[90:91]
	s_andn2_b64 s[16:17], s[72:73], exec
	s_and_b64 s[72:73], s[78:79], exec
	s_or_b64 s[72:73], s[16:17], s[72:73]
	s_andn2_b64 s[16:17], s[62:63], exec
	s_and_b64 s[62:63], s[76:77], exec
	s_or_b64 s[62:63], s[16:17], s[62:63]
.LBB6_115:                              ;   in Loop: Header=BB6_116 Depth=2
	s_or_b64 exec, exec, s[74:75]
	s_and_b64 s[16:17], exec, s[62:63]
	s_or_b64 s[58:59], s[16:17], s[58:59]
	s_andn2_b64 s[16:17], s[60:61], exec
	s_and_b64 s[60:61], s[72:73], exec
	s_or_b64 s[60:61], s[16:17], s[60:61]
	s_andn2_b64 exec, exec, s[58:59]
	s_cbranch_execz .LBB6_210
.LBB6_116:                              ;   Parent Loop BB6_58 Depth=1
                                        ; =>  This Inner Loop Header: Depth=2
	s_sleep 1
	s_waitcnt vmcnt(0) lgkmcnt(0)
	flat_load_dwordx2 v[52:53], v[36:37] sc1
	v_mov_b32_e32 v118, 1
	s_or_b64 s[72:73], s[72:73], exec
	s_or_b64 s[62:63], s[62:63], exec
                                        ; implicit-def: $vgpr9
	s_and_saveexec_b64 s[74:75], vcc
	s_cbranch_execz .LBB6_115
; %bb.117:                              ;   in Loop: Header=BB6_116 Depth=2
	s_add_i32 s92, s92, 1
	s_cmpk_lg_i32 s92, 0x2710
	s_cselect_b64 s[88:89], -1, 0
	s_cmpk_eq_i32 s92, 0x2710
	s_mov_b64 s[76:77], -1
	s_mov_b64 s[78:79], -1
                                        ; implicit-def: $vgpr9
	s_cbranch_scc1 .LBB6_119
; %bb.118:                              ;   in Loop: Header=BB6_116 Depth=2
	v_mov_b32_e32 v118, 1
	s_and_saveexec_b64 s[90:91], s[88:89]
	s_cbranch_execz .LBB6_114
	s_branch .LBB6_120
.LBB6_119:                              ;   in Loop: Header=BB6_116 Depth=2
	s_trap 2
	ds_read_b64 v[96:97], v0
	s_andn2_b64 s[88:89], s[88:89], exec
	s_mov_b32 s92, 0
	s_mov_b64 s[78:79], 0
	s_waitcnt vmcnt(0) lgkmcnt(0)
	flat_load_dword v9, v[96:97] sc0 sc1
	s_waitcnt vmcnt(0) lgkmcnt(0)
	buffer_inv sc0 sc1
	v_cmp_eq_u32_e64 s[16:17], 0, v9
	s_and_b64 s[16:17], s[16:17], exec
	s_or_b64 s[88:89], s[88:89], s[16:17]
	v_mov_b32_e32 v118, 1
	s_and_saveexec_b64 s[90:91], s[88:89]
	s_cbranch_execz .LBB6_114
.LBB6_120:                              ;   in Loop: Header=BB6_116 Depth=2
	s_waitcnt vmcnt(0) lgkmcnt(0)
	v_lshl_add_u64 v[96:97], v[52:53], 0, 8
	v_cmp_ge_u64_e64 s[16:17], v[96:97], v[10:11]
	v_mov_b32_e32 v118, 0
	s_or_b64 s[78:79], s[78:79], exec
	s_orn2_b64 s[76:77], s[16:17], exec
	s_branch .LBB6_114
.LBB6_121:                              ;   in Loop: Header=BB6_58 Depth=1
	s_or_b64 exec, exec, s[44:45]
                                        ; implicit-def: $vgpr1
	s_andn2_saveexec_b64 s[42:43], s[42:43]
	s_cbranch_execz .LBB6_57
	s_branch .LBB6_110
.LBB6_122:                              ;   in Loop: Header=BB6_58 Depth=1
	v_and_b32_e32 v1, 7, v22
	v_lshl_add_u64 v[98:99], v[68:69], 0, v[10:11]
	v_mul_lo_u32 v10, v1, v114
	v_ashrrev_i32_e32 v11, 31, v10
	v_and_b32_e32 v1, 7, v26
	v_lshl_add_u64 v[100:101], v[10:11], 4, v[20:21]
	v_mul_lo_u32 v10, v1, v114
	v_ashrrev_i32_e32 v11, 31, v10
	v_add_u32_e32 v119, 1, v22
	v_lshl_add_u64 v[102:103], v[10:11], 4, v[24:25]
	v_add_u32_e32 v1, 1, v26
	s_mov_b64 s[56:57], 0
	v_mov_b32_e32 v96, v0
	s_branch .LBB6_124
.LBB6_123:                              ;   in Loop: Header=BB6_124 Depth=2
	v_sub_u32_e32 v48, v48, v66
	v_cmp_gt_i32_e32 vcc, 1, v48
	v_lshl_add_u64 v[98:99], v[98:99], 0, v[66:67]
	s_or_b64 s[56:57], vcc, s[56:57]
	v_add_u32_e32 v96, v96, v2
	s_andn2_b64 exec, exec, s[56:57]
	s_cbranch_execz .LBB6_186
.LBB6_124:                              ;   Parent Loop BB6_58 Depth=1
                                        ; =>  This Loop Header: Depth=2
                                        ;       Child Loop BB6_128 Depth 3
	v_ashrrev_i32_e32 v97, 31, v96
	v_lshl_add_u64 v[112:113], v[96:97], 4, v[100:101]
	global_load_dwordx4 v[10:13], v[112:113], off nt
	v_cmp_eq_u32_e32 vcc, 0, v118
	v_mov_b32_e32 v118, 1
	s_and_saveexec_b64 s[58:59], vcc
	s_cbranch_execz .LBB6_136
; %bb.125:                              ;   in Loop: Header=BB6_124 Depth=2
	s_waitcnt vmcnt(0)
	v_cmp_ne_u32_e32 vcc, v119, v11
	v_cmp_ne_u32_e64 s[16:17], v119, v13
	s_or_b64 s[16:17], vcc, s[16:17]
	v_mov_b32_e32 v118, 0
	s_and_saveexec_b64 s[60:61], s[16:17]
	s_cbranch_execz .LBB6_135
; %bb.126:                              ;   in Loop: Header=BB6_124 Depth=2
	s_mov_b32 s88, 1
	s_mov_b64 s[72:73], 0
                                        ; implicit-def: $sgpr62_sgpr63
                                        ; implicit-def: $sgpr74_sgpr75
	s_branch .LBB6_128
.LBB6_127:                              ;   in Loop: Header=BB6_128 Depth=3
	s_or_b64 exec, exec, s[78:79]
	s_and_b64 s[16:17], exec, s[16:17]
	s_or_b64 s[72:73], s[16:17], s[72:73]
	s_andn2_b64 s[16:17], s[62:63], exec
	s_and_b64 s[62:63], s[74:75], exec
	s_or_b64 s[62:63], s[16:17], s[62:63]
	s_andn2_b64 exec, exec, s[72:73]
	s_cbranch_execz .LBB6_132
.LBB6_128:                              ;   Parent Loop BB6_58 Depth=1
                                        ;     Parent Loop BB6_124 Depth=2
                                        ; =>    This Inner Loop Header: Depth=3
	global_load_dwordx4 v[10:13], v[112:113], off nt
	s_add_i32 s88, s88, 1
	s_mov_b64 s[16:17], -1
	s_cmpk_lg_i32 s88, 0x2710
	s_mov_b64 s[76:77], -1
                                        ; implicit-def: $vgpr40
	s_cbranch_scc0 .LBB6_130
; %bb.129:                              ;   in Loop: Header=BB6_128 Depth=3
	s_or_b64 s[74:75], s[74:75], exec
	s_and_saveexec_b64 s[78:79], s[76:77]
	s_cbranch_execz .LBB6_127
	s_branch .LBB6_131
.LBB6_130:                              ;   in Loop: Header=BB6_128 Depth=3
	s_trap 2
	ds_read_b64 v[40:41], v0
	s_mov_b32 s88, 0
	s_waitcnt vmcnt(0) lgkmcnt(0)
	flat_load_dword v40, v[40:41] sc0 sc1
	s_waitcnt vmcnt(0) lgkmcnt(0)
	buffer_inv sc0 sc1
	v_cmp_eq_u32_e32 vcc, 0, v40
	s_orn2_b64 s[76:77], vcc, exec
	s_or_b64 s[74:75], s[74:75], exec
	s_and_saveexec_b64 s[78:79], s[76:77]
	s_cbranch_execz .LBB6_127
.LBB6_131:                              ;   in Loop: Header=BB6_128 Depth=3
	s_waitcnt vmcnt(0)
	v_cmp_eq_u32_e32 vcc, v119, v11
	v_cmp_eq_u32_e64 s[16:17], v119, v13
	s_and_b64 s[16:17], vcc, s[16:17]
	s_andn2_b64 s[74:75], s[74:75], exec
	s_orn2_b64 s[16:17], s[16:17], exec
	s_branch .LBB6_127
.LBB6_132:                              ;   in Loop: Header=BB6_124 Depth=2
	s_or_b64 exec, exec, s[72:73]
	v_mov_b32_e32 v118, 0
	s_and_saveexec_b64 s[16:17], s[62:63]
	s_xor_b64 s[16:17], exec, s[16:17]
	s_cbranch_execz .LBB6_134
; %bb.133:                              ;   in Loop: Header=BB6_124 Depth=2
	v_mov_b32_e32 v118, 1
	s_waitcnt lgkmcnt(0)
	ds_write_b32 v0, v40
	s_trap 2
.LBB6_134:                              ;   in Loop: Header=BB6_124 Depth=2
	s_or_b64 exec, exec, s[16:17]
.LBB6_135:                              ;   in Loop: Header=BB6_124 Depth=2
	s_or_b64 exec, exec, s[60:61]
.LBB6_136:                              ;   in Loop: Header=BB6_124 Depth=2
	s_or_b64 exec, exec, s[58:59]
	v_cmp_lt_u32_e32 vcc, 7, v48
	v_lshl_add_u64 v[112:113], v[96:97], 4, v[102:103]
	s_waitcnt vmcnt(0)
	v_mov_b32_e32 v11, v1
	v_mov_b32_e32 v13, v1
	s_cmp_lg_u64 vcc, exec
	s_mov_b64 s[16:17], -1
	global_store_dwordx4 v[112:113], v[10:13], off
	buffer_wbl2 sc0 sc1
	s_waitcnt vmcnt(0) lgkmcnt(0)
	s_cbranch_scc0 .LBB6_146
; %bb.137:                              ;   in Loop: Header=BB6_124 Depth=2
	v_cmp_ne_u32_e64 s[16:17], 1, v48
	flat_store_byte v[98:99], v10
	s_and_saveexec_b64 s[58:59], s[16:17]
	s_cbranch_execnz .LBB6_148
; %bb.138:                              ;   in Loop: Header=BB6_124 Depth=2
	s_or_b64 exec, exec, s[58:59]
	v_cmp_lt_u32_e64 s[16:17], 2, v48
	s_and_saveexec_b64 s[58:59], s[16:17]
	s_cbranch_execnz .LBB6_149
.LBB6_139:                              ;   in Loop: Header=BB6_124 Depth=2
	s_or_b64 exec, exec, s[58:59]
	v_cmp_lt_u32_e64 s[16:17], 3, v48
	s_and_saveexec_b64 s[58:59], s[16:17]
	s_cbranch_execnz .LBB6_150
.LBB6_140:                              ;   in Loop: Header=BB6_124 Depth=2
	s_or_b64 exec, exec, s[58:59]
	v_cmp_lt_u32_e64 s[16:17], 4, v48
	s_and_saveexec_b64 s[58:59], s[16:17]
	s_cbranch_execnz .LBB6_151
.LBB6_141:                              ;   in Loop: Header=BB6_124 Depth=2
	s_or_b64 exec, exec, s[58:59]
	v_cmp_lt_u32_e64 s[16:17], 5, v48
	s_and_saveexec_b64 s[58:59], s[16:17]
	s_cbranch_execnz .LBB6_152
.LBB6_142:                              ;   in Loop: Header=BB6_124 Depth=2
	s_or_b64 exec, exec, s[58:59]
	v_cmp_lt_u32_e64 s[16:17], 6, v48
	s_and_saveexec_b64 s[58:59], s[16:17]
	s_cbranch_execnz .LBB6_153
.LBB6_143:                              ;   in Loop: Header=BB6_124 Depth=2
	s_or_b64 exec, exec, s[58:59]
	s_and_saveexec_b64 s[16:17], vcc
	s_cbranch_execz .LBB6_145
.LBB6_144:                              ;   in Loop: Header=BB6_124 Depth=2
	v_lshrrev_b32_e32 v11, 24, v12
	flat_store_byte v[98:99], v11 offset:7
.LBB6_145:                              ;   in Loop: Header=BB6_124 Depth=2
	s_or_b64 exec, exec, s[16:17]
	s_mov_b64 s[16:17], 0
.LBB6_146:                              ;   in Loop: Header=BB6_124 Depth=2
	s_and_b64 vcc, exec, s[16:17]
	s_cbranch_vccz .LBB6_123
; %bb.147:                              ;   in Loop: Header=BB6_124 Depth=2
	v_mov_b32_e32 v11, v12
	global_store_dwordx2 v[98:99], v[10:11], off
	s_branch .LBB6_123
.LBB6_148:                              ;   in Loop: Header=BB6_124 Depth=2
	v_lshrrev_b32_e32 v11, 8, v10
	flat_store_byte v[98:99], v11 offset:1
	s_or_b64 exec, exec, s[58:59]
	v_cmp_lt_u32_e64 s[16:17], 2, v48
	s_and_saveexec_b64 s[58:59], s[16:17]
	s_cbranch_execz .LBB6_139
.LBB6_149:                              ;   in Loop: Header=BB6_124 Depth=2
	flat_store_byte_d16_hi v[98:99], v10 offset:2
	s_or_b64 exec, exec, s[58:59]
	v_cmp_lt_u32_e64 s[16:17], 3, v48
	s_and_saveexec_b64 s[58:59], s[16:17]
	s_cbranch_execz .LBB6_140
.LBB6_150:                              ;   in Loop: Header=BB6_124 Depth=2
	v_lshrrev_b32_e32 v11, 24, v10
	flat_store_byte v[98:99], v11 offset:3
	s_or_b64 exec, exec, s[58:59]
	v_cmp_lt_u32_e64 s[16:17], 4, v48
	s_and_saveexec_b64 s[58:59], s[16:17]
	s_cbranch_execz .LBB6_141
.LBB6_151:                              ;   in Loop: Header=BB6_124 Depth=2
	flat_store_byte v[98:99], v12 offset:4
	s_or_b64 exec, exec, s[58:59]
	v_cmp_lt_u32_e64 s[16:17], 5, v48
	s_and_saveexec_b64 s[58:59], s[16:17]
	s_cbranch_execz .LBB6_142
.LBB6_152:                              ;   in Loop: Header=BB6_124 Depth=2
	v_lshrrev_b32_e32 v11, 8, v12
	flat_store_byte v[98:99], v11 offset:5
	s_or_b64 exec, exec, s[58:59]
	v_cmp_lt_u32_e64 s[16:17], 6, v48
	s_and_saveexec_b64 s[58:59], s[16:17]
	s_cbranch_execz .LBB6_143
.LBB6_153:                              ;   in Loop: Header=BB6_124 Depth=2
	flat_store_byte_d16_hi v[98:99], v12 offset:6
	s_or_b64 exec, exec, s[58:59]
	s_and_saveexec_b64 s[16:17], vcc
	s_cbranch_execnz .LBB6_144
	s_branch .LBB6_145
.LBB6_154:                              ;   in Loop: Header=BB6_58 Depth=1
	v_lshl_add_u64 v[96:97], v[68:69], 0, v[10:11]
	v_and_b32_e32 v10, 7, v22
	v_mul_lo_u32 v10, v10, v114
	v_ashrrev_i32_e32 v11, 31, v10
	v_lshl_add_u64 v[98:99], v[10:11], 4, v[20:21]
	v_add_u32_e32 v48, 1, v22
	s_mov_b64 s[56:57], 0
	v_mov_b32_e32 v100, v0
	s_branch .LBB6_156
.LBB6_155:                              ;   in Loop: Header=BB6_156 Depth=2
	v_sub_u32_e32 v1, v1, v66
	v_cmp_gt_i32_e32 vcc, 1, v1
	v_lshl_add_u64 v[96:97], v[96:97], 0, v[66:67]
	s_or_b64 s[56:57], vcc, s[56:57]
	v_add_u32_e32 v100, v100, v2
	s_andn2_b64 exec, exec, s[56:57]
	s_cbranch_execz .LBB6_198
.LBB6_156:                              ;   Parent Loop BB6_58 Depth=1
                                        ; =>  This Loop Header: Depth=2
                                        ;       Child Loop BB6_160 Depth 3
	v_ashrrev_i32_e32 v101, 31, v100
	v_lshl_add_u64 v[102:103], v[100:101], 4, v[98:99]
	global_load_dwordx4 v[10:13], v[102:103], off nt
	v_cmp_eq_u32_e32 vcc, 0, v118
	v_mov_b32_e32 v118, 1
	s_and_saveexec_b64 s[58:59], vcc
	s_cbranch_execz .LBB6_168
; %bb.157:                              ;   in Loop: Header=BB6_156 Depth=2
	s_waitcnt vmcnt(0)
	v_cmp_ne_u32_e32 vcc, v48, v11
	v_cmp_ne_u32_e64 s[16:17], v48, v13
	s_or_b64 s[16:17], vcc, s[16:17]
	v_mov_b32_e32 v118, 0
	s_and_saveexec_b64 s[60:61], s[16:17]
	s_cbranch_execz .LBB6_167
; %bb.158:                              ;   in Loop: Header=BB6_156 Depth=2
	s_mov_b32 s88, 1
	s_mov_b64 s[72:73], 0
                                        ; implicit-def: $sgpr62_sgpr63
                                        ; implicit-def: $sgpr74_sgpr75
	s_branch .LBB6_160
.LBB6_159:                              ;   in Loop: Header=BB6_160 Depth=3
	s_or_b64 exec, exec, s[78:79]
	s_and_b64 s[16:17], exec, s[16:17]
	s_or_b64 s[72:73], s[16:17], s[72:73]
	s_andn2_b64 s[16:17], s[62:63], exec
	s_and_b64 s[62:63], s[74:75], exec
	s_or_b64 s[62:63], s[16:17], s[62:63]
	s_andn2_b64 exec, exec, s[72:73]
	s_cbranch_execz .LBB6_164
.LBB6_160:                              ;   Parent Loop BB6_58 Depth=1
                                        ;     Parent Loop BB6_156 Depth=2
                                        ; =>    This Inner Loop Header: Depth=3
	global_load_dwordx4 v[10:13], v[102:103], off nt
	s_add_i32 s88, s88, 1
	s_mov_b64 s[16:17], -1
	s_cmpk_lg_i32 s88, 0x2710
	s_mov_b64 s[76:77], -1
                                        ; implicit-def: $vgpr101
	s_cbranch_scc0 .LBB6_162
; %bb.161:                              ;   in Loop: Header=BB6_160 Depth=3
	s_or_b64 s[74:75], s[74:75], exec
	s_and_saveexec_b64 s[78:79], s[76:77]
	s_cbranch_execz .LBB6_159
	s_branch .LBB6_163
.LBB6_162:                              ;   in Loop: Header=BB6_160 Depth=3
	s_trap 2
	ds_read_b64 v[112:113], v0
	s_mov_b32 s88, 0
	s_waitcnt vmcnt(0) lgkmcnt(0)
	flat_load_dword v101, v[112:113] sc0 sc1
	s_waitcnt vmcnt(0) lgkmcnt(0)
	buffer_inv sc0 sc1
	v_cmp_eq_u32_e32 vcc, 0, v101
	s_orn2_b64 s[76:77], vcc, exec
	s_or_b64 s[74:75], s[74:75], exec
	s_and_saveexec_b64 s[78:79], s[76:77]
	s_cbranch_execz .LBB6_159
.LBB6_163:                              ;   in Loop: Header=BB6_160 Depth=3
	s_waitcnt vmcnt(0)
	v_cmp_eq_u32_e32 vcc, v48, v11
	v_cmp_eq_u32_e64 s[16:17], v48, v13
	s_and_b64 s[16:17], vcc, s[16:17]
	s_andn2_b64 s[74:75], s[74:75], exec
	s_orn2_b64 s[16:17], s[16:17], exec
	s_branch .LBB6_159
.LBB6_164:                              ;   in Loop: Header=BB6_156 Depth=2
	s_or_b64 exec, exec, s[72:73]
	v_mov_b32_e32 v118, 0
	s_and_saveexec_b64 s[16:17], s[62:63]
	s_xor_b64 s[16:17], exec, s[16:17]
	s_cbranch_execz .LBB6_166
; %bb.165:                              ;   in Loop: Header=BB6_156 Depth=2
	v_mov_b32_e32 v118, 1
	s_waitcnt lgkmcnt(0)
	ds_write_b32 v0, v101
	s_trap 2
.LBB6_166:                              ;   in Loop: Header=BB6_156 Depth=2
	s_or_b64 exec, exec, s[16:17]
.LBB6_167:                              ;   in Loop: Header=BB6_156 Depth=2
	s_or_b64 exec, exec, s[60:61]
.LBB6_168:                              ;   in Loop: Header=BB6_156 Depth=2
	s_or_b64 exec, exec, s[58:59]
	v_cmp_lt_u32_e32 vcc, 7, v1
	s_cmp_lg_u64 vcc, exec
	s_mov_b64 s[16:17], -1
	s_cbranch_scc0 .LBB6_178
; %bb.169:                              ;   in Loop: Header=BB6_156 Depth=2
	v_cmp_ne_u32_e64 s[16:17], 1, v1
	s_waitcnt vmcnt(0)
	flat_store_byte v[96:97], v10
	s_and_saveexec_b64 s[58:59], s[16:17]
	s_cbranch_execnz .LBB6_180
; %bb.170:                              ;   in Loop: Header=BB6_156 Depth=2
	s_or_b64 exec, exec, s[58:59]
	v_cmp_lt_u32_e64 s[16:17], 2, v1
	s_and_saveexec_b64 s[58:59], s[16:17]
	s_cbranch_execnz .LBB6_181
.LBB6_171:                              ;   in Loop: Header=BB6_156 Depth=2
	s_or_b64 exec, exec, s[58:59]
	v_cmp_lt_u32_e64 s[16:17], 3, v1
	s_and_saveexec_b64 s[58:59], s[16:17]
	s_cbranch_execnz .LBB6_182
.LBB6_172:                              ;   in Loop: Header=BB6_156 Depth=2
	s_or_b64 exec, exec, s[58:59]
	v_cmp_lt_u32_e64 s[16:17], 4, v1
	s_and_saveexec_b64 s[58:59], s[16:17]
	s_cbranch_execnz .LBB6_183
.LBB6_173:                              ;   in Loop: Header=BB6_156 Depth=2
	s_or_b64 exec, exec, s[58:59]
	v_cmp_lt_u32_e64 s[16:17], 5, v1
	s_and_saveexec_b64 s[58:59], s[16:17]
	s_cbranch_execnz .LBB6_184
.LBB6_174:                              ;   in Loop: Header=BB6_156 Depth=2
	s_or_b64 exec, exec, s[58:59]
	v_cmp_lt_u32_e64 s[16:17], 6, v1
	s_and_saveexec_b64 s[58:59], s[16:17]
	s_cbranch_execnz .LBB6_185
.LBB6_175:                              ;   in Loop: Header=BB6_156 Depth=2
	s_or_b64 exec, exec, s[58:59]
	s_and_saveexec_b64 s[16:17], vcc
	s_cbranch_execz .LBB6_177
.LBB6_176:                              ;   in Loop: Header=BB6_156 Depth=2
	v_lshrrev_b32_e32 v11, 24, v12
	flat_store_byte v[96:97], v11 offset:7
.LBB6_177:                              ;   in Loop: Header=BB6_156 Depth=2
	s_or_b64 exec, exec, s[16:17]
	s_mov_b64 s[16:17], 0
.LBB6_178:                              ;   in Loop: Header=BB6_156 Depth=2
	s_and_b64 vcc, exec, s[16:17]
	s_cbranch_vccz .LBB6_155
; %bb.179:                              ;   in Loop: Header=BB6_156 Depth=2
	s_waitcnt vmcnt(0)
	v_mov_b32_e32 v11, v12
	global_store_dwordx2 v[96:97], v[10:11], off
	s_branch .LBB6_155
.LBB6_180:                              ;   in Loop: Header=BB6_156 Depth=2
	v_lshrrev_b32_e32 v11, 8, v10
	flat_store_byte v[96:97], v11 offset:1
	s_or_b64 exec, exec, s[58:59]
	v_cmp_lt_u32_e64 s[16:17], 2, v1
	s_and_saveexec_b64 s[58:59], s[16:17]
	s_cbranch_execz .LBB6_171
.LBB6_181:                              ;   in Loop: Header=BB6_156 Depth=2
	flat_store_byte_d16_hi v[96:97], v10 offset:2
	s_or_b64 exec, exec, s[58:59]
	v_cmp_lt_u32_e64 s[16:17], 3, v1
	s_and_saveexec_b64 s[58:59], s[16:17]
	s_cbranch_execz .LBB6_172
.LBB6_182:                              ;   in Loop: Header=BB6_156 Depth=2
	v_lshrrev_b32_e32 v11, 24, v10
	flat_store_byte v[96:97], v11 offset:3
	s_or_b64 exec, exec, s[58:59]
	v_cmp_lt_u32_e64 s[16:17], 4, v1
	s_and_saveexec_b64 s[58:59], s[16:17]
	s_cbranch_execz .LBB6_173
.LBB6_183:                              ;   in Loop: Header=BB6_156 Depth=2
	flat_store_byte v[96:97], v12 offset:4
	s_or_b64 exec, exec, s[58:59]
	v_cmp_lt_u32_e64 s[16:17], 5, v1
	s_and_saveexec_b64 s[58:59], s[16:17]
	s_cbranch_execz .LBB6_174
.LBB6_184:                              ;   in Loop: Header=BB6_156 Depth=2
	v_lshrrev_b32_e32 v11, 8, v12
	flat_store_byte v[96:97], v11 offset:5
	s_or_b64 exec, exec, s[58:59]
	v_cmp_lt_u32_e64 s[16:17], 6, v1
	s_and_saveexec_b64 s[58:59], s[16:17]
	s_cbranch_execz .LBB6_175
.LBB6_185:                              ;   in Loop: Header=BB6_156 Depth=2
	flat_store_byte_d16_hi v[96:97], v12 offset:6
	s_or_b64 exec, exec, s[58:59]
	s_and_saveexec_b64 s[16:17], vcc
	s_cbranch_execnz .LBB6_176
	s_branch .LBB6_177
.LBB6_186:                              ;   in Loop: Header=BB6_58 Depth=1
	s_or_b64 exec, exec, s[56:57]
	s_or_b64 exec, exec, s[46:47]
	s_and_saveexec_b64 s[16:17], s[10:11]
	s_cbranch_execz .LBB6_97
.LBB6_187:                              ;   in Loop: Header=BB6_58 Depth=1
	s_and_saveexec_b64 s[46:47], s[26:27]
	s_xor_b64 s[46:47], exec, s[46:47]
	s_cbranch_execz .LBB6_232
; %bb.188:                              ;   in Loop: Header=BB6_58 Depth=1
	s_and_saveexec_b64 s[56:57], s[12:13]
	s_cbranch_execz .LBB6_231
; %bb.189:                              ;   in Loop: Header=BB6_58 Depth=1
	s_mov_b64 s[60:61], exec
	v_mbcnt_lo_u32_b32 v1, s60, 0
	v_mbcnt_hi_u32_b32 v1, s61, v1
	v_cmp_eq_u32_e32 vcc, 0, v1
	buffer_wbl2 sc1
	s_waitcnt vmcnt(0) lgkmcnt(0)
	buffer_inv sc1
	s_and_saveexec_b64 s[58:59], vcc
	s_cbranch_execz .LBB6_191
; %bb.190:                              ;   in Loop: Header=BB6_58 Depth=1
	s_bcnt1_i32_b64 s60, s[60:61]
	v_mov_b32_e32 v48, s60
	ds_add_u64 v0, v[48:49]
	s_trap 2
.LBB6_191:                              ;   in Loop: Header=BB6_58 Depth=1
	s_or_b64 exec, exec, s[58:59]
	s_trap 2
	ds_read_b64 v[10:11], v0
	s_waitcnt lgkmcnt(0)
	v_lshl_add_u64 v[34:35], v[34:35], 0, v[54:55]
	v_cmp_lt_u64_e32 vcc, v[10:11], v[34:35]
	s_and_saveexec_b64 s[58:59], vcc
	s_cbranch_execz .LBB6_230
; %bb.192:                              ;   in Loop: Header=BB6_58 Depth=1
	s_mov_b32 s88, 0
	s_mov_b64 s[60:61], 0
                                        ; implicit-def: $sgpr62_sgpr63
                                        ; implicit-def: $sgpr72_sgpr73
	s_branch .LBB6_194
.LBB6_193:                              ;   in Loop: Header=BB6_194 Depth=2
	s_or_b64 exec, exec, s[76:77]
	s_and_b64 s[74:75], exec, s[78:79]
	s_or_b64 s[60:61], s[74:75], s[60:61]
	s_andn2_b64 s[62:63], s[62:63], exec
	s_and_b64 s[74:75], s[72:73], exec
	s_or_b64 s[62:63], s[62:63], s[74:75]
	s_andn2_b64 exec, exec, s[60:61]
	s_cbranch_execz .LBB6_228
.LBB6_194:                              ;   Parent Loop BB6_58 Depth=1
                                        ; =>  This Inner Loop Header: Depth=2
	s_add_i32 s88, s88, 1
	s_cmpk_lg_i32 s88, 0x2710
	s_cselect_b64 s[74:75], -1, 0
	s_and_b64 vcc, exec, s[74:75]
	s_cbranch_vccz .LBB6_196
; %bb.195:                              ;   in Loop: Header=BB6_194 Depth=2
	s_mov_b64 s[78:79], -1
	s_or_b64 s[72:73], s[72:73], exec
	s_and_saveexec_b64 s[76:77], s[74:75]
	s_cbranch_execz .LBB6_193
	s_branch .LBB6_197
.LBB6_196:                              ;   in Loop: Header=BB6_194 Depth=2
	s_trap 2
	ds_read_b64 v[10:11], v0
	s_andn2_b64 s[74:75], s[74:75], exec
	s_mov_b32 s88, 0
	s_waitcnt lgkmcnt(0)
	flat_load_dword v1, v[10:11] sc0 sc1
	s_waitcnt vmcnt(0) lgkmcnt(0)
	buffer_inv sc0 sc1
	v_cmp_eq_u32_e32 vcc, 0, v1
	s_and_b64 s[76:77], vcc, exec
	s_or_b64 s[74:75], s[74:75], s[76:77]
	s_mov_b64 s[78:79], -1
	s_or_b64 s[72:73], s[72:73], exec
	s_and_saveexec_b64 s[76:77], s[74:75]
	s_cbranch_execz .LBB6_193
.LBB6_197:                              ;   in Loop: Header=BB6_194 Depth=2
	s_sleep 1
	s_trap 2
	ds_read_b64 v[10:11], v0
	s_waitcnt lgkmcnt(0)
	s_andn2_b64 s[72:73], s[72:73], exec
	v_cmp_ge_u64_e32 vcc, v[10:11], v[34:35]
	s_orn2_b64 s[78:79], vcc, exec
	s_branch .LBB6_193
.LBB6_198:                              ;   in Loop: Header=BB6_58 Depth=1
	s_or_b64 exec, exec, s[56:57]
	s_or_b64 exec, exec, s[46:47]
	s_and_saveexec_b64 s[16:17], s[10:11]
	s_cbranch_execz .LBB6_106
.LBB6_199:                              ;   in Loop: Header=BB6_58 Depth=1
	s_and_saveexec_b64 s[46:47], s[26:27]
	s_xor_b64 s[46:47], exec, s[46:47]
	s_cbranch_execz .LBB6_239
; %bb.200:                              ;   in Loop: Header=BB6_58 Depth=1
	s_and_saveexec_b64 s[56:57], s[12:13]
	s_cbranch_execz .LBB6_238
; %bb.201:                              ;   in Loop: Header=BB6_58 Depth=1
	s_mov_b64 s[60:61], exec
	v_mbcnt_lo_u32_b32 v1, s60, 0
	v_mbcnt_hi_u32_b32 v1, s61, v1
	v_cmp_eq_u32_e32 vcc, 0, v1
	buffer_wbl2 sc1
	s_waitcnt vmcnt(0) lgkmcnt(0)
	buffer_inv sc1
	s_and_saveexec_b64 s[58:59], vcc
	s_cbranch_execz .LBB6_203
; %bb.202:                              ;   in Loop: Header=BB6_58 Depth=1
	s_bcnt1_i32_b64 s60, s[60:61]
	v_mov_b32_e32 v48, s60
	ds_add_u64 v0, v[48:49]
	s_trap 2
.LBB6_203:                              ;   in Loop: Header=BB6_58 Depth=1
	s_or_b64 exec, exec, s[58:59]
	s_trap 2
	ds_read_b64 v[10:11], v0
	s_waitcnt lgkmcnt(0)
	v_lshl_add_u64 v[34:35], v[34:35], 0, v[54:55]
	v_cmp_lt_u64_e32 vcc, v[10:11], v[34:35]
	s_and_saveexec_b64 s[58:59], vcc
	s_cbranch_execz .LBB6_237
; %bb.204:                              ;   in Loop: Header=BB6_58 Depth=1
	s_mov_b32 s88, 0
	s_mov_b64 s[60:61], 0
                                        ; implicit-def: $sgpr62_sgpr63
                                        ; implicit-def: $sgpr72_sgpr73
	s_branch .LBB6_206
.LBB6_205:                              ;   in Loop: Header=BB6_206 Depth=2
	s_or_b64 exec, exec, s[76:77]
	s_and_b64 s[74:75], exec, s[78:79]
	s_or_b64 s[60:61], s[74:75], s[60:61]
	s_andn2_b64 s[62:63], s[62:63], exec
	s_and_b64 s[74:75], s[72:73], exec
	s_or_b64 s[62:63], s[62:63], s[74:75]
	s_andn2_b64 exec, exec, s[60:61]
	s_cbranch_execz .LBB6_235
.LBB6_206:                              ;   Parent Loop BB6_58 Depth=1
                                        ; =>  This Inner Loop Header: Depth=2
	s_add_i32 s88, s88, 1
	s_cmpk_lg_i32 s88, 0x2710
	s_cselect_b64 s[74:75], -1, 0
	s_and_b64 vcc, exec, s[74:75]
	s_cbranch_vccz .LBB6_208
; %bb.207:                              ;   in Loop: Header=BB6_206 Depth=2
	s_mov_b64 s[78:79], -1
	s_or_b64 s[72:73], s[72:73], exec
	s_and_saveexec_b64 s[76:77], s[74:75]
	s_cbranch_execz .LBB6_205
	s_branch .LBB6_209
.LBB6_208:                              ;   in Loop: Header=BB6_206 Depth=2
	s_trap 2
	ds_read_b64 v[10:11], v0
	s_andn2_b64 s[74:75], s[74:75], exec
	s_mov_b32 s88, 0
	s_waitcnt lgkmcnt(0)
	flat_load_dword v1, v[10:11] sc0 sc1
	s_waitcnt vmcnt(0) lgkmcnt(0)
	buffer_inv sc0 sc1
	v_cmp_eq_u32_e32 vcc, 0, v1
	s_and_b64 s[76:77], vcc, exec
	s_or_b64 s[74:75], s[74:75], s[76:77]
	s_mov_b64 s[78:79], -1
	s_or_b64 s[72:73], s[72:73], exec
	s_and_saveexec_b64 s[76:77], s[74:75]
	s_cbranch_execz .LBB6_205
.LBB6_209:                              ;   in Loop: Header=BB6_206 Depth=2
	s_sleep 1
	s_trap 2
	ds_read_b64 v[10:11], v0
	s_waitcnt lgkmcnt(0)
	s_andn2_b64 s[72:73], s[72:73], exec
	v_cmp_ge_u64_e32 vcc, v[10:11], v[34:35]
	s_orn2_b64 s[78:79], vcc, exec
	s_branch .LBB6_205
.LBB6_210:                              ;   in Loop: Header=BB6_58 Depth=1
	s_or_b64 exec, exec, s[58:59]
	s_xor_b64 s[16:17], s[60:61], -1
	s_and_saveexec_b64 s[58:59], s[16:17]
	s_xor_b64 s[16:17], exec, s[58:59]
	s_cbranch_execz .LBB6_212
; %bb.211:                              ;   in Loop: Header=BB6_58 Depth=1
	v_mov_b32_e32 v118, 1
	s_waitcnt lgkmcnt(0)
	ds_write_b32 v0, v9
	s_trap 2
.LBB6_212:                              ;   in Loop: Header=BB6_58 Depth=1
	s_or_b64 exec, exec, s[16:17]
.LBB6_213:                              ;   in Loop: Header=BB6_58 Depth=1
	s_or_b64 exec, exec, s[56:57]
	s_and_saveexec_b64 s[16:17], s[8:9]
	s_cbranch_execz .LBB6_215
; %bb.214:                              ;   in Loop: Header=BB6_58 Depth=1
	v_and_b32_e32 v48, 0x7ffffff8, v8
	v_cmp_eq_u64_e32 vcc, s[40:41], v[48:49]
	v_and_b32_e32 v8, 7, v8
	s_nop 0
	v_cndmask_b32_e32 v9, v12, v114, vcc
	v_lshlrev_b32_e32 v12, 4, v9
	v_ashrrev_i32_e32 v13, 31, v12
	v_mad_u64_u32 v[8:9], s[56:57], v8, 24, v[6:7]
	flat_store_dwordx2 v[8:9], v[12:13] offset:8 sc0 sc1
	s_waitcnt vmcnt(0)
.LBB6_215:                              ;   in Loop: Header=BB6_58 Depth=1
	s_or_b64 exec, exec, s[16:17]
	v_mov_b64_e32 v[8:9], v[10:11]
.LBB6_216:                              ;   in Loop: Header=BB6_58 Depth=1
	s_or_b64 exec, exec, s[46:47]
	s_and_saveexec_b64 s[16:17], s[10:11]
	s_cbranch_execz .LBB6_249
; %bb.217:                              ;   in Loop: Header=BB6_58 Depth=1
	s_and_saveexec_b64 s[46:47], s[26:27]
	s_xor_b64 s[46:47], exec, s[46:47]
	s_cbranch_execz .LBB6_246
; %bb.218:                              ;   in Loop: Header=BB6_58 Depth=1
	s_and_saveexec_b64 s[56:57], s[12:13]
	s_cbranch_execz .LBB6_245
; %bb.219:                              ;   in Loop: Header=BB6_58 Depth=1
	s_mov_b64 s[60:61], exec
	v_mbcnt_lo_u32_b32 v10, s60, 0
	v_mbcnt_hi_u32_b32 v10, s61, v10
	v_cmp_eq_u32_e32 vcc, 0, v10
	buffer_wbl2 sc1
	s_waitcnt vmcnt(0) lgkmcnt(0)
	buffer_inv sc1
	s_and_saveexec_b64 s[58:59], vcc
	s_cbranch_execz .LBB6_221
; %bb.220:                              ;   in Loop: Header=BB6_58 Depth=1
	s_bcnt1_i32_b64 s60, s[60:61]
	v_mov_b32_e32 v48, s60
	ds_add_u64 v0, v[48:49]
	s_trap 2
.LBB6_221:                              ;   in Loop: Header=BB6_58 Depth=1
	s_or_b64 exec, exec, s[58:59]
	s_trap 2
	ds_read_b64 v[10:11], v0
	s_waitcnt lgkmcnt(0)
	v_lshl_add_u64 v[34:35], v[34:35], 0, v[54:55]
	v_cmp_lt_u64_e32 vcc, v[10:11], v[34:35]
	s_and_saveexec_b64 s[58:59], vcc
	s_cbranch_execz .LBB6_244
; %bb.222:                              ;   in Loop: Header=BB6_58 Depth=1
	s_mov_b32 s88, 0
	s_mov_b64 s[60:61], 0
                                        ; implicit-def: $sgpr62_sgpr63
                                        ; implicit-def: $sgpr72_sgpr73
	s_branch .LBB6_224
.LBB6_223:                              ;   in Loop: Header=BB6_224 Depth=2
	s_or_b64 exec, exec, s[76:77]
	s_and_b64 s[74:75], exec, s[78:79]
	s_or_b64 s[60:61], s[74:75], s[60:61]
	s_andn2_b64 s[62:63], s[62:63], exec
	s_and_b64 s[74:75], s[72:73], exec
	s_or_b64 s[62:63], s[62:63], s[74:75]
	s_andn2_b64 exec, exec, s[60:61]
	s_cbranch_execz .LBB6_242
.LBB6_224:                              ;   Parent Loop BB6_58 Depth=1
                                        ; =>  This Inner Loop Header: Depth=2
	s_add_i32 s88, s88, 1
	s_cmpk_lg_i32 s88, 0x2710
	s_cselect_b64 s[74:75], -1, 0
	s_and_b64 vcc, exec, s[74:75]
	s_cbranch_vccz .LBB6_226
; %bb.225:                              ;   in Loop: Header=BB6_224 Depth=2
	s_mov_b64 s[78:79], -1
	s_or_b64 s[72:73], s[72:73], exec
	s_and_saveexec_b64 s[76:77], s[74:75]
	s_cbranch_execz .LBB6_223
	s_branch .LBB6_227
.LBB6_226:                              ;   in Loop: Header=BB6_224 Depth=2
	s_trap 2
	ds_read_b64 v[10:11], v0
	s_andn2_b64 s[74:75], s[74:75], exec
	s_mov_b32 s88, 0
	s_waitcnt lgkmcnt(0)
	flat_load_dword v10, v[10:11] sc0 sc1
	s_waitcnt vmcnt(0) lgkmcnt(0)
	buffer_inv sc0 sc1
	v_cmp_eq_u32_e32 vcc, 0, v10
	s_and_b64 s[76:77], vcc, exec
	s_or_b64 s[74:75], s[74:75], s[76:77]
	s_mov_b64 s[78:79], -1
	s_or_b64 s[72:73], s[72:73], exec
	s_and_saveexec_b64 s[76:77], s[74:75]
	s_cbranch_execz .LBB6_223
.LBB6_227:                              ;   in Loop: Header=BB6_224 Depth=2
	s_sleep 1
	s_trap 2
	ds_read_b64 v[10:11], v0
	s_waitcnt lgkmcnt(0)
	s_andn2_b64 s[72:73], s[72:73], exec
	v_cmp_ge_u64_e32 vcc, v[10:11], v[34:35]
	s_orn2_b64 s[78:79], vcc, exec
	s_branch .LBB6_223
.LBB6_228:                              ;   in Loop: Header=BB6_58 Depth=1
	s_or_b64 exec, exec, s[60:61]
	s_and_saveexec_b64 s[60:61], s[62:63]
	s_xor_b64 s[60:61], exec, s[60:61]
	s_cbranch_execz .LBB6_230
; %bb.229:                              ;   in Loop: Header=BB6_58 Depth=1
	ds_write_b32 v0, v117
	s_trap 2
.LBB6_230:                              ;   in Loop: Header=BB6_58 Depth=1
	s_or_b64 exec, exec, s[58:59]
	;;#ASMSTART
	s_wakeup
	;;#ASMEND
.LBB6_231:                              ;   in Loop: Header=BB6_58 Depth=1
	s_or_b64 exec, exec, s[56:57]
.LBB6_232:                              ;   in Loop: Header=BB6_58 Depth=1
	s_andn2_saveexec_b64 s[46:47], s[46:47]
	s_cbranch_execz .LBB6_234
; %bb.233:                              ;   in Loop: Header=BB6_58 Depth=1
	buffer_wbl2 sc1
	s_waitcnt vmcnt(0) lgkmcnt(0)
	buffer_inv sc1
	s_barrier
.LBB6_234:                              ;   in Loop: Header=BB6_58 Depth=1
	s_or_b64 exec, exec, s[46:47]
	s_or_b64 exec, exec, s[16:17]
	s_and_saveexec_b64 s[16:17], s[14:15]
	s_cbranch_execnz .LBB6_98
	s_branch .LBB6_99
.LBB6_235:                              ;   in Loop: Header=BB6_58 Depth=1
	s_or_b64 exec, exec, s[60:61]
	s_and_saveexec_b64 s[60:61], s[62:63]
	s_xor_b64 s[60:61], exec, s[60:61]
	s_cbranch_execz .LBB6_237
; %bb.236:                              ;   in Loop: Header=BB6_58 Depth=1
	ds_write_b32 v0, v117
	s_trap 2
.LBB6_237:                              ;   in Loop: Header=BB6_58 Depth=1
	s_or_b64 exec, exec, s[58:59]
	;;#ASMSTART
	s_wakeup
	;;#ASMEND
.LBB6_238:                              ;   in Loop: Header=BB6_58 Depth=1
	s_or_b64 exec, exec, s[56:57]
.LBB6_239:                              ;   in Loop: Header=BB6_58 Depth=1
	s_andn2_saveexec_b64 s[46:47], s[46:47]
	s_cbranch_execz .LBB6_241
; %bb.240:                              ;   in Loop: Header=BB6_58 Depth=1
	buffer_wbl2 sc1
	s_waitcnt vmcnt(0) lgkmcnt(0)
	buffer_inv sc1
	s_barrier
.LBB6_241:                              ;   in Loop: Header=BB6_58 Depth=1
	s_or_b64 exec, exec, s[46:47]
	s_or_b64 exec, exec, s[16:17]
	s_and_saveexec_b64 s[16:17], s[14:15]
	s_cbranch_execnz .LBB6_107
	s_branch .LBB6_108
.LBB6_242:                              ;   in Loop: Header=BB6_58 Depth=1
	s_or_b64 exec, exec, s[60:61]
	s_and_saveexec_b64 s[60:61], s[62:63]
	s_xor_b64 s[60:61], exec, s[60:61]
	s_cbranch_execz .LBB6_244
; %bb.243:                              ;   in Loop: Header=BB6_58 Depth=1
	ds_write_b32 v0, v117
	s_trap 2
.LBB6_244:                              ;   in Loop: Header=BB6_58 Depth=1
	s_or_b64 exec, exec, s[58:59]
	;;#ASMSTART
	s_wakeup
	;;#ASMEND
.LBB6_245:                              ;   in Loop: Header=BB6_58 Depth=1
	s_or_b64 exec, exec, s[56:57]
.LBB6_246:                              ;   in Loop: Header=BB6_58 Depth=1
	s_andn2_saveexec_b64 s[46:47], s[46:47]
	s_cbranch_execz .LBB6_248
; %bb.247:                              ;   in Loop: Header=BB6_58 Depth=1
	buffer_wbl2 sc1
	s_waitcnt vmcnt(0) lgkmcnt(0)
	buffer_inv sc1
	s_barrier
.LBB6_248:                              ;   in Loop: Header=BB6_58 Depth=1
	s_or_b64 exec, exec, s[46:47]
.LBB6_249:                              ;   in Loop: Header=BB6_58 Depth=1
	s_or_b64 exec, exec, s[16:17]
	v_sub_u32_e32 v97, v1, v64
	v_cmp_lt_i32_e32 vcc, 0, v97
	v_mov_b32_e32 v96, v0
	s_and_saveexec_b64 s[46:47], vcc
	s_cbranch_execz .LBB6_275
; %bb.250:                              ;   in Loop: Header=BB6_58 Depth=1
	v_and_b32_e32 v10, 7, v26
	v_mul_lo_u32 v12, v10, v114
	v_ashrrev_i32_e32 v13, 31, v12
	v_add_u32_e32 v11, 1, v26
	v_add_u32_e32 v1, v3, v1
	v_lshl_add_u64 v[98:99], v[12:13], 4, v[84:85]
	s_mov_b64 s[56:57], 0
	v_mov_b64_e32 v[100:101], 0
	v_mov_b32_e32 v112, v65
	v_mov_b32_e32 v96, v0
	s_branch .LBB6_252
.LBB6_251:                              ;   in Loop: Header=BB6_252 Depth=2
	v_sub_u32_e32 v97, v97, v66
	v_cmp_gt_i32_e32 vcc, 1, v97
	v_add_u32_e32 v96, v96, v2
	v_lshl_add_u64 v[100:101], v[100:101], 0, v[66:67]
	v_add_u32_e32 v112, v112, v116
	s_or_b64 s[56:57], vcc, s[56:57]
	v_lshl_add_u64 v[98:99], v[98:99], 0, v[70:71]
	s_andn2_b64 exec, exec, s[56:57]
	s_cbranch_execz .LBB6_274
.LBB6_252:                              ;   Parent Loop BB6_58 Depth=1
                                        ; =>  This Inner Loop Header: Depth=2
	v_lshl_add_u64 v[102:103], v[80:81], 0, v[100:101]
	v_and_b32_e32 v12, -4, v102
	v_mov_b32_e32 v13, v103
	global_load_dword v10, v[12:13], off nt
	v_min_u32_e32 v48, 8, v97
	v_and_b32_e32 v102, 3, v102
	v_add_u32_e32 v48, v102, v48
	v_cmp_lt_u32_e32 vcc, 4, v48
	v_mov_b32_e32 v113, 0
	v_mov_b32_e32 v119, 0
	s_and_saveexec_b64 s[16:17], vcc
	s_cbranch_execz .LBB6_254
; %bb.253:                              ;   in Loop: Header=BB6_252 Depth=2
	global_load_dword v119, v[12:13], off offset:4 nt
.LBB6_254:                              ;   in Loop: Header=BB6_252 Depth=2
	s_or_b64 exec, exec, s[16:17]
	v_cmp_lt_u64_e32 vcc, 8, v[48:49]
	s_and_saveexec_b64 s[16:17], vcc
	s_cbranch_execz .LBB6_256
; %bb.255:                              ;   in Loop: Header=BB6_252 Depth=2
	global_load_dword v113, v[12:13], off offset:8 nt
.LBB6_256:                              ;   in Loop: Header=BB6_252 Depth=2
	s_or_b64 exec, exec, s[16:17]
	v_cmp_lt_u32_e32 vcc, 7, v97
	v_lshl_add_u64 v[102:103], v[82:83], 0, v[100:101]
	s_waitcnt vmcnt(0)
	v_alignbit_b32 v10, v119, v10, v112
	v_alignbit_b32 v12, v113, v119, v112
	v_mov_b32_e32 v13, v11
	s_cmp_lg_u64 vcc, exec
	s_mov_b64 s[16:17], -1
	global_store_dwordx4 v[98:99], v[10:13], off
	buffer_wbl2 sc0 sc1
	s_waitcnt vmcnt(0) lgkmcnt(0)
	s_cbranch_scc0 .LBB6_266
; %bb.257:                              ;   in Loop: Header=BB6_252 Depth=2
	v_cmp_ne_u32_e64 s[16:17], v1, v100
	flat_store_byte v[102:103], v10
	s_and_saveexec_b64 s[58:59], s[16:17]
	s_cbranch_execnz .LBB6_268
; %bb.258:                              ;   in Loop: Header=BB6_252 Depth=2
	s_or_b64 exec, exec, s[58:59]
	v_cmp_lt_u32_e64 s[16:17], 2, v97
	s_and_saveexec_b64 s[58:59], s[16:17]
	s_cbranch_execnz .LBB6_269
.LBB6_259:                              ;   in Loop: Header=BB6_252 Depth=2
	s_or_b64 exec, exec, s[58:59]
	v_cmp_lt_u32_e64 s[16:17], 3, v97
	s_and_saveexec_b64 s[58:59], s[16:17]
	s_cbranch_execnz .LBB6_270
.LBB6_260:                              ;   in Loop: Header=BB6_252 Depth=2
	s_or_b64 exec, exec, s[58:59]
	v_cmp_lt_u32_e64 s[16:17], 4, v97
	s_and_saveexec_b64 s[58:59], s[16:17]
	s_cbranch_execnz .LBB6_271
.LBB6_261:                              ;   in Loop: Header=BB6_252 Depth=2
	s_or_b64 exec, exec, s[58:59]
	v_cmp_lt_u32_e64 s[16:17], 5, v97
	s_and_saveexec_b64 s[58:59], s[16:17]
	s_cbranch_execnz .LBB6_272
.LBB6_262:                              ;   in Loop: Header=BB6_252 Depth=2
	s_or_b64 exec, exec, s[58:59]
	v_cmp_lt_u32_e64 s[16:17], 6, v97
	s_and_saveexec_b64 s[58:59], s[16:17]
	s_cbranch_execnz .LBB6_273
.LBB6_263:                              ;   in Loop: Header=BB6_252 Depth=2
	s_or_b64 exec, exec, s[58:59]
	s_and_saveexec_b64 s[16:17], vcc
	s_cbranch_execz .LBB6_265
.LBB6_264:                              ;   in Loop: Header=BB6_252 Depth=2
	v_lshrrev_b32_e32 v13, 24, v12
	flat_store_byte v[102:103], v13 offset:7
.LBB6_265:                              ;   in Loop: Header=BB6_252 Depth=2
	s_or_b64 exec, exec, s[16:17]
	s_mov_b64 s[16:17], 0
.LBB6_266:                              ;   in Loop: Header=BB6_252 Depth=2
	s_and_b64 vcc, exec, s[16:17]
	s_cbranch_vccz .LBB6_251
; %bb.267:                              ;   in Loop: Header=BB6_252 Depth=2
	v_mov_b32_e32 v40, v10
	v_mov_b32_e32 v41, v12
	global_store_dwordx2 v[102:103], v[40:41], off
	s_branch .LBB6_251
.LBB6_268:                              ;   in Loop: Header=BB6_252 Depth=2
	v_lshrrev_b32_e32 v13, 8, v10
	flat_store_byte v[102:103], v13 offset:1
	s_or_b64 exec, exec, s[58:59]
	v_cmp_lt_u32_e64 s[16:17], 2, v97
	s_and_saveexec_b64 s[58:59], s[16:17]
	s_cbranch_execz .LBB6_259
.LBB6_269:                              ;   in Loop: Header=BB6_252 Depth=2
	flat_store_byte_d16_hi v[102:103], v10 offset:2
	s_or_b64 exec, exec, s[58:59]
	v_cmp_lt_u32_e64 s[16:17], 3, v97
	s_and_saveexec_b64 s[58:59], s[16:17]
	s_cbranch_execz .LBB6_260
.LBB6_270:                              ;   in Loop: Header=BB6_252 Depth=2
	v_lshrrev_b32_e32 v13, 24, v10
	flat_store_byte v[102:103], v13 offset:3
	s_or_b64 exec, exec, s[58:59]
	v_cmp_lt_u32_e64 s[16:17], 4, v97
	s_and_saveexec_b64 s[58:59], s[16:17]
	s_cbranch_execz .LBB6_261
.LBB6_271:                              ;   in Loop: Header=BB6_252 Depth=2
	flat_store_byte v[102:103], v12 offset:4
	s_or_b64 exec, exec, s[58:59]
	v_cmp_lt_u32_e64 s[16:17], 5, v97
	s_and_saveexec_b64 s[58:59], s[16:17]
	s_cbranch_execz .LBB6_262
.LBB6_272:                              ;   in Loop: Header=BB6_252 Depth=2
	v_lshrrev_b32_e32 v13, 8, v12
	flat_store_byte v[102:103], v13 offset:5
	s_or_b64 exec, exec, s[58:59]
	v_cmp_lt_u32_e64 s[16:17], 6, v97
	s_and_saveexec_b64 s[58:59], s[16:17]
	s_cbranch_execz .LBB6_263
.LBB6_273:                              ;   in Loop: Header=BB6_252 Depth=2
	flat_store_byte_d16_hi v[102:103], v12 offset:6
	s_or_b64 exec, exec, s[58:59]
	s_and_saveexec_b64 s[16:17], vcc
	s_cbranch_execnz .LBB6_264
	s_branch .LBB6_265
.LBB6_274:                              ;   in Loop: Header=BB6_58 Depth=1
	s_or_b64 exec, exec, s[56:57]
.LBB6_275:                              ;   in Loop: Header=BB6_58 Depth=1
	s_or_b64 exec, exec, s[46:47]
	v_and_b32_e32 v48, 0x7ffffff8, v26
	v_cmp_eq_u64_e32 vcc, s[40:41], v[48:49]
	v_cmp_lt_i32_e64 s[16:17], v96, v114
	s_and_b64 s[46:47], vcc, s[16:17]
	s_and_saveexec_b64 s[16:17], s[46:47]
	s_cbranch_execz .LBB6_278
; %bb.276:                              ;   in Loop: Header=BB6_58 Depth=1
	v_and_b32_e32 v1, 7, v26
	v_mul_lo_u32 v12, v1, v114
	v_ashrrev_i32_e32 v13, 31, v12
	v_ashrrev_i32_e32 v97, 31, v96
	v_lshlrev_b64 v[12:13], 4, v[12:13]
	v_lshl_add_u64 v[12:13], v[96:97], 4, v[12:13]
	v_add_u32_e32 v11, 1, v26
	v_mov_b32_e32 v10, v49
	v_lshl_add_u64 v[98:99], v[24:25], 0, v[12:13]
	s_mov_b64 s[46:47], 0
.LBB6_277:                              ;   Parent Loop BB6_58 Depth=1
                                        ; =>  This Inner Loop Header: Depth=2
	v_add_u32_e32 v96, v96, v2
	v_mov_b32_e32 v12, v10
	v_mov_b32_e32 v13, v11
	v_cmp_ge_i32_e32 vcc, v96, v114
	global_store_dwordx4 v[98:99], v[10:13], off
	s_or_b64 s[46:47], vcc, s[46:47]
	v_lshl_add_u64 v[98:99], v[98:99], 0, v[70:71]
	buffer_wbl2 sc0 sc1
	s_waitcnt vmcnt(0) lgkmcnt(0)
	s_andn2_b64 exec, exec, s[46:47]
	s_cbranch_execnz .LBB6_277
.LBB6_278:                              ;   in Loop: Header=BB6_58 Depth=1
	s_or_b64 exec, exec, s[16:17]
	v_lshl_add_u64 v[26:27], v[26:27], 0, 1
                                        ; implicit-def: $vgpr1
                                        ; implicit-def: $vgpr12
.LBB6_279:                              ;   in Loop: Header=BB6_58 Depth=1
	s_andn2_saveexec_b64 s[44:45], s[44:45]
	s_cbranch_execz .LBB6_56
; %bb.280:                              ;   in Loop: Header=BB6_58 Depth=1
	s_and_saveexec_b64 s[46:47], s[6:7]
	s_cbranch_execz .LBB6_296
; %bb.281:                              ;   in Loop: Header=BB6_58 Depth=1
	v_lshl_add_u64 v[10:11], v[8:9], 0, 1
	s_waitcnt vmcnt(0) lgkmcnt(0)
	v_lshl_add_u64 v[96:97], v[52:53], 0, 8
	v_cmp_lt_u64_e32 vcc, v[96:97], v[10:11]
	s_and_saveexec_b64 s[56:57], vcc
	s_cbranch_execz .LBB6_293
; %bb.282:                              ;   in Loop: Header=BB6_58 Depth=1
	s_mov_b32 s92, 0
	v_cmp_eq_u32_e32 vcc, 0, v118
	s_mov_b64 s[58:59], 0
                                        ; implicit-def: $sgpr60_sgpr61
                                        ; implicit-def: $sgpr62_sgpr63
                                        ; implicit-def: $sgpr72_sgpr73
	s_branch .LBB6_285
.LBB6_283:                              ;   in Loop: Header=BB6_285 Depth=2
	s_or_b64 exec, exec, s[90:91]
	s_andn2_b64 s[16:17], s[72:73], exec
	s_and_b64 s[72:73], s[78:79], exec
	s_or_b64 s[72:73], s[16:17], s[72:73]
	s_andn2_b64 s[16:17], s[62:63], exec
	s_and_b64 s[62:63], s[76:77], exec
	s_or_b64 s[62:63], s[16:17], s[62:63]
.LBB6_284:                              ;   in Loop: Header=BB6_285 Depth=2
	s_or_b64 exec, exec, s[74:75]
	s_and_b64 s[16:17], exec, s[62:63]
	s_or_b64 s[58:59], s[16:17], s[58:59]
	s_andn2_b64 s[16:17], s[60:61], exec
	s_and_b64 s[60:61], s[72:73], exec
	s_or_b64 s[60:61], s[16:17], s[60:61]
	s_andn2_b64 exec, exec, s[58:59]
	s_cbranch_execz .LBB6_290
.LBB6_285:                              ;   Parent Loop BB6_58 Depth=1
                                        ; =>  This Inner Loop Header: Depth=2
	s_sleep 1
	s_waitcnt vmcnt(0) lgkmcnt(0)
	flat_load_dwordx2 v[52:53], v[36:37] sc1
	v_mov_b32_e32 v118, 1
	s_or_b64 s[72:73], s[72:73], exec
	s_or_b64 s[62:63], s[62:63], exec
                                        ; implicit-def: $vgpr9
	s_and_saveexec_b64 s[74:75], vcc
	s_cbranch_execz .LBB6_284
; %bb.286:                              ;   in Loop: Header=BB6_285 Depth=2
	s_add_i32 s92, s92, 1
	s_cmpk_lg_i32 s92, 0x2710
	s_cselect_b64 s[88:89], -1, 0
	s_cmpk_eq_i32 s92, 0x2710
	s_mov_b64 s[76:77], -1
	s_mov_b64 s[78:79], -1
                                        ; implicit-def: $vgpr9
	s_cbranch_scc1 .LBB6_288
; %bb.287:                              ;   in Loop: Header=BB6_285 Depth=2
	v_mov_b32_e32 v118, 1
	s_and_saveexec_b64 s[90:91], s[88:89]
	s_cbranch_execz .LBB6_283
	s_branch .LBB6_289
.LBB6_288:                              ;   in Loop: Header=BB6_285 Depth=2
	s_trap 2
	ds_read_b64 v[96:97], v0
	s_andn2_b64 s[88:89], s[88:89], exec
	s_mov_b32 s92, 0
	s_mov_b64 s[78:79], 0
	s_waitcnt vmcnt(0) lgkmcnt(0)
	flat_load_dword v9, v[96:97] sc0 sc1
	s_waitcnt vmcnt(0) lgkmcnt(0)
	buffer_inv sc0 sc1
	v_cmp_eq_u32_e64 s[16:17], 0, v9
	s_and_b64 s[16:17], s[16:17], exec
	s_or_b64 s[88:89], s[88:89], s[16:17]
	v_mov_b32_e32 v118, 1
	s_and_saveexec_b64 s[90:91], s[88:89]
	s_cbranch_execz .LBB6_283
.LBB6_289:                              ;   in Loop: Header=BB6_285 Depth=2
	s_waitcnt vmcnt(0) lgkmcnt(0)
	v_lshl_add_u64 v[96:97], v[52:53], 0, 8
	v_cmp_ge_u64_e64 s[16:17], v[96:97], v[10:11]
	v_mov_b32_e32 v118, 0
	s_or_b64 s[78:79], s[78:79], exec
	s_orn2_b64 s[76:77], s[16:17], exec
	s_branch .LBB6_283
.LBB6_290:                              ;   in Loop: Header=BB6_58 Depth=1
	s_or_b64 exec, exec, s[58:59]
	s_xor_b64 s[16:17], s[60:61], -1
	s_and_saveexec_b64 s[58:59], s[16:17]
	s_xor_b64 s[16:17], exec, s[58:59]
	s_cbranch_execz .LBB6_292
; %bb.291:                              ;   in Loop: Header=BB6_58 Depth=1
	v_mov_b32_e32 v118, 1
	s_waitcnt lgkmcnt(0)
	ds_write_b32 v0, v9
	s_trap 2
.LBB6_292:                              ;   in Loop: Header=BB6_58 Depth=1
	s_or_b64 exec, exec, s[16:17]
.LBB6_293:                              ;   in Loop: Header=BB6_58 Depth=1
	s_or_b64 exec, exec, s[56:57]
	s_and_saveexec_b64 s[16:17], s[8:9]
	s_cbranch_execz .LBB6_295
; %bb.294:                              ;   in Loop: Header=BB6_58 Depth=1
	v_and_b32_e32 v48, 0x7ffffff8, v8
	v_cmp_eq_u64_e32 vcc, s[40:41], v[48:49]
	v_and_b32_e32 v8, 7, v8
	s_nop 0
	v_cndmask_b32_e32 v9, v12, v114, vcc
	v_lshlrev_b32_e32 v12, 4, v9
	v_ashrrev_i32_e32 v13, 31, v12
	v_mad_u64_u32 v[8:9], s[56:57], v8, 24, v[6:7]
	flat_store_dwordx2 v[8:9], v[12:13] offset:8 sc0 sc1
	s_waitcnt vmcnt(0)
.LBB6_295:                              ;   in Loop: Header=BB6_58 Depth=1
	s_or_b64 exec, exec, s[16:17]
	v_mov_b64_e32 v[8:9], v[10:11]
.LBB6_296:                              ;   in Loop: Header=BB6_58 Depth=1
	s_or_b64 exec, exec, s[46:47]
	s_and_saveexec_b64 s[16:17], s[10:11]
	s_cbranch_execz .LBB6_315
; %bb.297:                              ;   in Loop: Header=BB6_58 Depth=1
	s_and_saveexec_b64 s[46:47], s[26:27]
	s_xor_b64 s[46:47], exec, s[46:47]
	s_cbranch_execz .LBB6_312
; %bb.298:                              ;   in Loop: Header=BB6_58 Depth=1
	s_and_saveexec_b64 s[56:57], s[12:13]
	s_cbranch_execz .LBB6_311
; %bb.299:                              ;   in Loop: Header=BB6_58 Depth=1
	s_mov_b64 s[60:61], exec
	v_mbcnt_lo_u32_b32 v10, s60, 0
	v_mbcnt_hi_u32_b32 v10, s61, v10
	v_cmp_eq_u32_e32 vcc, 0, v10
	buffer_wbl2 sc1
	s_waitcnt vmcnt(0) lgkmcnt(0)
	buffer_inv sc1
	s_and_saveexec_b64 s[58:59], vcc
	s_cbranch_execz .LBB6_301
; %bb.300:                              ;   in Loop: Header=BB6_58 Depth=1
	s_bcnt1_i32_b64 s60, s[60:61]
	v_mov_b32_e32 v48, s60
	ds_add_u64 v0, v[48:49]
	s_trap 2
.LBB6_301:                              ;   in Loop: Header=BB6_58 Depth=1
	s_or_b64 exec, exec, s[58:59]
	s_trap 2
	ds_read_b64 v[10:11], v0
	s_waitcnt lgkmcnt(0)
	v_lshl_add_u64 v[34:35], v[34:35], 0, v[54:55]
	v_cmp_lt_u64_e32 vcc, v[10:11], v[34:35]
	s_and_saveexec_b64 s[58:59], vcc
	s_cbranch_execz .LBB6_310
; %bb.302:                              ;   in Loop: Header=BB6_58 Depth=1
	s_mov_b32 s88, 0
	s_mov_b64 s[60:61], 0
                                        ; implicit-def: $sgpr62_sgpr63
                                        ; implicit-def: $sgpr72_sgpr73
	s_branch .LBB6_304
.LBB6_303:                              ;   in Loop: Header=BB6_304 Depth=2
	s_or_b64 exec, exec, s[76:77]
	s_and_b64 s[74:75], exec, s[78:79]
	s_or_b64 s[60:61], s[74:75], s[60:61]
	s_andn2_b64 s[62:63], s[62:63], exec
	s_and_b64 s[74:75], s[72:73], exec
	s_or_b64 s[62:63], s[62:63], s[74:75]
	s_andn2_b64 exec, exec, s[60:61]
	s_cbranch_execz .LBB6_308
.LBB6_304:                              ;   Parent Loop BB6_58 Depth=1
                                        ; =>  This Inner Loop Header: Depth=2
	s_add_i32 s88, s88, 1
	s_cmpk_lg_i32 s88, 0x2710
	s_cselect_b64 s[74:75], -1, 0
	s_and_b64 vcc, exec, s[74:75]
	s_cbranch_vccz .LBB6_306
; %bb.305:                              ;   in Loop: Header=BB6_304 Depth=2
	s_mov_b64 s[78:79], -1
	s_or_b64 s[72:73], s[72:73], exec
	s_and_saveexec_b64 s[76:77], s[74:75]
	s_cbranch_execz .LBB6_303
	s_branch .LBB6_307
.LBB6_306:                              ;   in Loop: Header=BB6_304 Depth=2
	s_trap 2
	ds_read_b64 v[10:11], v0
	s_andn2_b64 s[74:75], s[74:75], exec
	s_mov_b32 s88, 0
	s_waitcnt lgkmcnt(0)
	flat_load_dword v10, v[10:11] sc0 sc1
	s_waitcnt vmcnt(0) lgkmcnt(0)
	buffer_inv sc0 sc1
	v_cmp_eq_u32_e32 vcc, 0, v10
	s_and_b64 s[76:77], vcc, exec
	s_or_b64 s[74:75], s[74:75], s[76:77]
	s_mov_b64 s[78:79], -1
	s_or_b64 s[72:73], s[72:73], exec
	s_and_saveexec_b64 s[76:77], s[74:75]
	s_cbranch_execz .LBB6_303
.LBB6_307:                              ;   in Loop: Header=BB6_304 Depth=2
	s_sleep 1
	s_trap 2
	ds_read_b64 v[10:11], v0
	s_waitcnt lgkmcnt(0)
	s_andn2_b64 s[72:73], s[72:73], exec
	v_cmp_ge_u64_e32 vcc, v[10:11], v[34:35]
	s_orn2_b64 s[78:79], vcc, exec
	s_branch .LBB6_303
.LBB6_308:                              ;   in Loop: Header=BB6_58 Depth=1
	s_or_b64 exec, exec, s[60:61]
	s_and_saveexec_b64 s[60:61], s[62:63]
	s_xor_b64 s[60:61], exec, s[60:61]
	s_cbranch_execz .LBB6_310
; %bb.309:                              ;   in Loop: Header=BB6_58 Depth=1
	ds_write_b32 v0, v117
	s_trap 2
.LBB6_310:                              ;   in Loop: Header=BB6_58 Depth=1
	s_or_b64 exec, exec, s[58:59]
	;;#ASMSTART
	s_wakeup
	;;#ASMEND
.LBB6_311:                              ;   in Loop: Header=BB6_58 Depth=1
	s_or_b64 exec, exec, s[56:57]
.LBB6_312:                              ;   in Loop: Header=BB6_58 Depth=1
	s_andn2_saveexec_b64 s[46:47], s[46:47]
	s_cbranch_execz .LBB6_314
; %bb.313:                              ;   in Loop: Header=BB6_58 Depth=1
	buffer_wbl2 sc1
	s_waitcnt vmcnt(0) lgkmcnt(0)
	buffer_inv sc1
	s_barrier
.LBB6_314:                              ;   in Loop: Header=BB6_58 Depth=1
	s_or_b64 exec, exec, s[46:47]
.LBB6_315:                              ;   in Loop: Header=BB6_58 Depth=1
	s_or_b64 exec, exec, s[16:17]
	v_sub_u32_e32 v97, v1, v64
	v_cmp_lt_i32_e32 vcc, 0, v97
	v_and_b32_e32 v1, 7, v26
	v_add_u32_e32 v11, 1, v26
	v_mov_b32_e32 v96, v0
	s_and_saveexec_b64 s[16:17], vcc
	s_cbranch_execz .LBB6_323
; %bb.316:                              ;   in Loop: Header=BB6_58 Depth=1
	v_mul_lo_u32 v12, v1, v114
	v_ashrrev_i32_e32 v13, 31, v12
	v_lshl_add_u64 v[98:99], v[12:13], 4, v[84:85]
	s_mov_b64 s[46:47], 0
	v_mov_b32_e32 v102, v65
	v_mov_b64_e32 v[100:101], v[80:81]
	v_mov_b32_e32 v96, v0
	s_branch .LBB6_318
.LBB6_317:                              ;   in Loop: Header=BB6_318 Depth=2
	s_or_b64 exec, exec, s[56:57]
	v_sub_u32_e32 v97, v97, v66
	s_waitcnt vmcnt(0)
	v_alignbit_b32 v10, v112, v10, v102
	v_alignbit_b32 v12, v103, v112, v102
	v_mov_b32_e32 v13, v11
	v_cmp_gt_i32_e32 vcc, 1, v97
	global_store_dwordx4 v[98:99], v[10:13], off
	v_add_u32_e32 v96, v96, v2
	v_lshl_add_u64 v[100:101], v[100:101], 0, v[66:67]
	v_add_u32_e32 v102, v102, v116
	s_or_b64 s[46:47], vcc, s[46:47]
	v_lshl_add_u64 v[98:99], v[98:99], 0, v[70:71]
	buffer_wbl2 sc0 sc1
	s_waitcnt vmcnt(0) lgkmcnt(0)
	s_andn2_b64 exec, exec, s[46:47]
	s_cbranch_execz .LBB6_322
.LBB6_318:                              ;   Parent Loop BB6_58 Depth=1
                                        ; =>  This Inner Loop Header: Depth=2
	v_and_b32_e32 v12, -4, v100
	v_mov_b32_e32 v13, v101
	global_load_dword v10, v[12:13], off nt
	v_min_u32_e32 v48, 8, v97
	v_and_b32_e32 v103, 3, v100
	v_add_u32_e32 v48, v103, v48
	v_cmp_lt_u32_e32 vcc, 4, v48
	v_mov_b32_e32 v103, 0
	v_mov_b32_e32 v112, 0
	s_and_saveexec_b64 s[56:57], vcc
	s_cbranch_execz .LBB6_320
; %bb.319:                              ;   in Loop: Header=BB6_318 Depth=2
	global_load_dword v112, v[12:13], off offset:4 nt
.LBB6_320:                              ;   in Loop: Header=BB6_318 Depth=2
	s_or_b64 exec, exec, s[56:57]
	v_cmp_lt_u64_e32 vcc, 8, v[48:49]
	s_and_saveexec_b64 s[56:57], vcc
	s_cbranch_execz .LBB6_317
; %bb.321:                              ;   in Loop: Header=BB6_318 Depth=2
	global_load_dword v103, v[12:13], off offset:8 nt
	s_branch .LBB6_317
.LBB6_322:                              ;   in Loop: Header=BB6_58 Depth=1
	s_or_b64 exec, exec, s[46:47]
.LBB6_323:                              ;   in Loop: Header=BB6_58 Depth=1
	s_or_b64 exec, exec, s[16:17]
	v_and_b32_e32 v48, 0x7ffffff8, v26
	v_cmp_eq_u64_e32 vcc, s[40:41], v[48:49]
	v_cmp_lt_i32_e64 s[16:17], v96, v114
	s_and_b64 s[46:47], vcc, s[16:17]
	s_and_saveexec_b64 s[16:17], s[46:47]
	s_cbranch_execz .LBB6_55
; %bb.324:                              ;   in Loop: Header=BB6_58 Depth=1
	v_mul_lo_u32 v12, v1, v114
	v_ashrrev_i32_e32 v13, 31, v12
	v_ashrrev_i32_e32 v97, 31, v96
	v_lshlrev_b64 v[12:13], 4, v[12:13]
	v_lshl_add_u64 v[12:13], v[96:97], 4, v[12:13]
	v_mov_b32_e32 v10, v49
	v_lshl_add_u64 v[98:99], v[24:25], 0, v[12:13]
	s_mov_b64 s[46:47], 0
.LBB6_325:                              ;   Parent Loop BB6_58 Depth=1
                                        ; =>  This Inner Loop Header: Depth=2
	v_add_u32_e32 v96, v96, v2
	v_mov_b32_e32 v12, v10
	v_mov_b32_e32 v13, v11
	v_cmp_ge_i32_e32 vcc, v96, v114
	global_store_dwordx4 v[98:99], v[10:13], off
	s_or_b64 s[46:47], vcc, s[46:47]
	v_lshl_add_u64 v[98:99], v[98:99], 0, v[70:71]
	buffer_wbl2 sc0 sc1
	s_waitcnt vmcnt(0) lgkmcnt(0)
	s_andn2_b64 exec, exec, s[46:47]
	s_cbranch_execnz .LBB6_325
	s_branch .LBB6_55
.LBB6_326:
	s_or_b64 exec, exec, s[24:25]
	s_or_b64 exec, exec, s[22:23]
	s_and_saveexec_b64 s[2:3], s[20:21]
	s_cbranch_execz .LBB6_52
.LBB6_327:
	s_waitcnt lgkmcnt(0)
	flat_store_dwordx2 v[18:19], v[28:29] offset:104
	s_or_b64 exec, exec, s[2:3]
	s_and_saveexec_b64 s[2:3], s[0:1]
	s_cbranch_execz .LBB6_53
.LBB6_328:
	s_waitcnt lgkmcnt(0)
	flat_store_dwordx2 v[16:17], v[8:9] offset:104
	s_or_b64 exec, exec, s[2:3]
	v_cmp_ne_u32_e32 vcc, 64, v2
	s_and_saveexec_b64 s[0:1], vcc
	s_cbranch_execz .LBB6_346
.LBB6_329:
	v_cmp_ne_u32_sdwa s[2:3], v2, v30 src0_sel:DWORD src1_sel:WORD_0
	s_and_saveexec_b64 s[4:5], s[2:3]
	s_xor_b64 s[2:3], exec, s[4:5]
	s_cbranch_execz .LBB6_344
; %bb.330:
	v_and_b32_e32 v0, 63, v31
	v_cmp_eq_u32_e32 vcc, 0, v0
	s_and_saveexec_b64 s[4:5], vcc
	s_cbranch_execz .LBB6_343
; %bb.331:
	s_mov_b64 s[8:9], exec
	v_mbcnt_lo_u32_b32 v0, s8, 0
	v_mbcnt_hi_u32_b32 v0, s9, v0
	v_cmp_eq_u32_e32 vcc, 0, v0
	buffer_wbl2 sc1
	s_waitcnt vmcnt(0) lgkmcnt(0)
	buffer_inv sc1
	s_and_saveexec_b64 s[6:7], vcc
	s_cbranch_execz .LBB6_333
; %bb.332:
	s_bcnt1_i32_b64 s8, s[8:9]
	v_mov_b32_e32 v0, s8
	v_mov_b32_e32 v1, 0
	ds_add_u64 v0, v[0:1]
	s_trap 2
.LBB6_333:
	s_or_b64 exec, exec, s[6:7]
	s_trap 2
	ds_read_b64 v[4:5], v0
	s_waitcnt lgkmcnt(0)
	v_lshrrev_b32_e32 v0, 6, v2
	v_mov_b32_e32 v1, 0
	v_lshl_add_u64 v[0:1], v[34:35], 0, v[0:1]
	v_cmp_lt_u64_e32 vcc, v[4:5], v[0:1]
	s_and_saveexec_b64 s[6:7], vcc
	s_cbranch_execz .LBB6_342
; %bb.334:
	s_mov_b32 s22, 0
	s_mov_b64 s[8:9], 0
                                        ; implicit-def: $sgpr10_sgpr11
                                        ; implicit-def: $sgpr12_sgpr13
	s_branch .LBB6_336
.LBB6_335:                              ;   in Loop: Header=BB6_336 Depth=1
	s_or_b64 exec, exec, s[16:17]
	s_and_b64 s[14:15], exec, s[20:21]
	s_or_b64 s[8:9], s[14:15], s[8:9]
	s_andn2_b64 s[10:11], s[10:11], exec
	s_and_b64 s[14:15], s[12:13], exec
	s_or_b64 s[10:11], s[10:11], s[14:15]
	s_andn2_b64 exec, exec, s[8:9]
	s_cbranch_execz .LBB6_340
.LBB6_336:                              ; =>This Inner Loop Header: Depth=1
	s_add_i32 s22, s22, 1
	s_cmpk_lg_i32 s22, 0x2710
	s_cselect_b64 s[14:15], -1, 0
	s_and_b64 vcc, exec, s[14:15]
	s_cbranch_vccz .LBB6_338
; %bb.337:                              ;   in Loop: Header=BB6_336 Depth=1
	s_mov_b64 s[20:21], -1
	s_or_b64 s[12:13], s[12:13], exec
	s_and_saveexec_b64 s[16:17], s[14:15]
	s_cbranch_execz .LBB6_335
	s_branch .LBB6_339
.LBB6_338:                              ;   in Loop: Header=BB6_336 Depth=1
	s_trap 2
	ds_read_b64 v[2:3], v0
	s_andn2_b64 s[14:15], s[14:15], exec
	s_mov_b32 s22, 0
	s_waitcnt lgkmcnt(0)
	flat_load_dword v2, v[2:3] sc0 sc1
	s_waitcnt vmcnt(0) lgkmcnt(0)
	buffer_inv sc0 sc1
	v_cmp_eq_u32_e32 vcc, 0, v2
	s_and_b64 s[16:17], vcc, exec
	s_or_b64 s[14:15], s[14:15], s[16:17]
	s_mov_b64 s[20:21], -1
	s_or_b64 s[12:13], s[12:13], exec
	s_and_saveexec_b64 s[16:17], s[14:15]
	s_cbranch_execz .LBB6_335
.LBB6_339:                              ;   in Loop: Header=BB6_336 Depth=1
	s_sleep 1
	s_trap 2
	ds_read_b64 v[2:3], v0
	s_waitcnt lgkmcnt(0)
	s_andn2_b64 s[12:13], s[12:13], exec
	v_cmp_ge_u64_e32 vcc, v[2:3], v[0:1]
	s_orn2_b64 s[20:21], vcc, exec
	s_branch .LBB6_335
.LBB6_340:
	s_or_b64 exec, exec, s[8:9]
	s_and_saveexec_b64 s[8:9], s[10:11]
	s_xor_b64 s[8:9], exec, s[8:9]
	s_cbranch_execz .LBB6_342
; %bb.341:
	v_mov_b32_e32 v0, 1
	ds_write_b32 v0, v0
	s_trap 2
.LBB6_342:
	s_or_b64 exec, exec, s[6:7]
	;;#ASMSTART
	s_wakeup
	;;#ASMEND
.LBB6_343:
	s_or_b64 exec, exec, s[4:5]
.LBB6_344:
	s_andn2_saveexec_b64 s[2:3], s[2:3]
	s_cbranch_execz .LBB6_346
; %bb.345:
	buffer_wbl2 sc1
	s_waitcnt vmcnt(0) lgkmcnt(0)
	buffer_inv sc1
	s_barrier
.LBB6_346:
	s_or_b64 exec, exec, s[0:1]
	s_or_b64 exec, exec, s[18:19]
	scratch_load_dword v41, off, s32        ; 4-byte Folded Reload
	scratch_load_dword v40, off, s32 offset:4 ; 4-byte Folded Reload
	s_waitcnt vmcnt(0) lgkmcnt(0)
	s_setpc_b64 s[30:31]
.Lfunc_end6:
	.size	_ZN12_GLOBAL__N_17runRingIa7FuncSumIaE7ProtoLLLi0ELi2ELi0EEEviiP15ncclDevWorkColl, .Lfunc_end6-_ZN12_GLOBAL__N_17runRingIa7FuncSumIaE7ProtoLLLi0ELi2ELi0EEEviiP15ncclDevWorkColl
                                        ; -- End function
	.set .L_ZN12_GLOBAL__N_17runRingIa7FuncSumIaE7ProtoLLLi0ELi2ELi0EEEviiP15ncclDevWorkColl.num_vgpr, 120
	.set .L_ZN12_GLOBAL__N_17runRingIa7FuncSumIaE7ProtoLLLi0ELi2ELi0EEEviiP15ncclDevWorkColl.num_agpr, 0
	.set .L_ZN12_GLOBAL__N_17runRingIa7FuncSumIaE7ProtoLLLi0ELi2ELi0EEEviiP15ncclDevWorkColl.numbered_sgpr, 93
	.set .L_ZN12_GLOBAL__N_17runRingIa7FuncSumIaE7ProtoLLLi0ELi2ELi0EEEviiP15ncclDevWorkColl.num_named_barrier, 0
	.set .L_ZN12_GLOBAL__N_17runRingIa7FuncSumIaE7ProtoLLLi0ELi2ELi0EEEviiP15ncclDevWorkColl.private_seg_size, 12
	.set .L_ZN12_GLOBAL__N_17runRingIa7FuncSumIaE7ProtoLLLi0ELi2ELi0EEEviiP15ncclDevWorkColl.uses_vcc, 1
	.set .L_ZN12_GLOBAL__N_17runRingIa7FuncSumIaE7ProtoLLLi0ELi2ELi0EEEviiP15ncclDevWorkColl.uses_flat_scratch, 0
	.set .L_ZN12_GLOBAL__N_17runRingIa7FuncSumIaE7ProtoLLLi0ELi2ELi0EEEviiP15ncclDevWorkColl.has_dyn_sized_stack, 0
	.set .L_ZN12_GLOBAL__N_17runRingIa7FuncSumIaE7ProtoLLLi0ELi2ELi0EEEviiP15ncclDevWorkColl.has_recursion, 0
	.set .L_ZN12_GLOBAL__N_17runRingIa7FuncSumIaE7ProtoLLLi0ELi2ELi0EEEviiP15ncclDevWorkColl.has_indirect_call, 0
	.section	.AMDGPU.csdata,"",@progbits
; Function info:
; codeLenInByte = 10152
; TotalNumSgprs: 99
; NumVgprs: 120
; NumAgprs: 0
; TotalNumVgprs: 120
; ScratchSize: 12
; MemoryBound: 1
	.text
	.p2align	2                               ; -- Begin function _Z42ncclDevFunc_Broadcast_RING_LL_Sum_i8_0_0_2v
	.type	_Z42ncclDevFunc_Broadcast_RING_LL_Sum_i8_0_0_2v,@function
_Z42ncclDevFunc_Broadcast_RING_LL_Sum_i8_0_0_2v: ; @_Z42ncclDevFunc_Broadcast_RING_LL_Sum_i8_0_0_2v
; %bb.0:
	s_waitcnt vmcnt(0) expcnt(0) lgkmcnt(0)
	s_mov_b32 s0, s33
	s_mov_b32 s33, s32
	s_or_saveexec_b64 s[2:3], -1
	scratch_store_dword off, v43, s33 offset:12 ; 4-byte Folded Spill
	s_mov_b64 exec, s[2:3]
	v_writelane_b32 v43, s0, 5
	s_add_i32 s32, s32, 32
	scratch_store_dword off, v40, s33 offset:8 ; 4-byte Folded Spill
	scratch_store_dword off, v41, s33 offset:4 ; 4-byte Folded Spill
	scratch_store_dword off, v42, s33       ; 4-byte Folded Spill
	v_writelane_b32 v43, s34, 0
	v_writelane_b32 v43, s35, 1
	;; [unrolled: 1-line block ×4, first 2 shown]
	s_nop 1
	v_writelane_b32 v43, s31, 4
	s_trap 2
	ds_read_b32 v0, v0
	v_mov_b32_e32 v40, v31
	s_waitcnt lgkmcnt(0)
	v_cmp_gt_i32_e32 vcc, 1, v0
	s_cbranch_vccnz .LBB7_8
; %bb.1:
	s_mov_b32 s93, s12
	s_mov_b64 s[94:95], s[8:9]
	s_mov_b32 s36, 0
	v_and_b32_e32 v41, 0x3ff, v40
	v_mov_b32_e32 v42, 6
	s_branch .LBB7_3
.LBB7_2:                                ;   in Loop: Header=BB7_3 Depth=1
	s_or_b64 exec, exec, s[34:35]
	s_trap 2
	ds_read_b32 v0, v0
	s_add_i32 s36, s36, 1
	s_waitcnt lgkmcnt(0)
	v_cmp_lt_i32_e32 vcc, s36, v0
	s_cbranch_vccz .LBB7_8
.LBB7_3:                                ; =>This Inner Loop Header: Depth=1
	s_trap 2
	ds_read_b32 v0, v0
	s_cmp_eq_u32 s36, 0
	s_cbranch_scc1 .LBB7_6
; %bb.4:                                ;   in Loop: Header=BB7_3 Depth=1
	s_trap 2
	s_waitcnt lgkmcnt(0)
	ds_read_b32 v1, v0
	s_waitcnt lgkmcnt(0)
	v_xor_b32_e32 v1, v1, v0
	v_and_b32_e32 v1, 0xff0000, v1
	v_cmp_eq_u32_e32 vcc, 0, v1
	s_cbranch_vccnz .LBB7_6
; %bb.5:                                ;   in Loop: Header=BB7_3 Depth=1
	s_barrier
	ds_read_b32 v0, v0
.LBB7_6:                                ;   in Loop: Header=BB7_3 Depth=1
	s_waitcnt lgkmcnt(0)
	v_lshlrev_b32_sdwa v1, v42, v0 dst_sel:DWORD dst_unused:UNUSED_PAD src0_sel:DWORD src1_sel:BYTE_2
	v_cmp_lt_u32_e32 vcc, v41, v1
	s_and_saveexec_b64 s[34:35], vcc
	s_cbranch_execz .LBB7_2
; %bb.7:                                ;   in Loop: Header=BB7_3 Depth=1
	s_mov_b64 s[0:1], src_shared_base
	s_getpc_b64 s[2:3]
	s_add_u32 s2, s2, _ZN12_GLOBAL__N_17runRingIa7FuncSumIaE7ProtoLLLi0ELi2ELi0EEEviiP15ncclDevWorkColl@rel32@lo+4
	s_addc_u32 s3, s3, _ZN12_GLOBAL__N_17runRingIa7FuncSumIaE7ProtoLLLi0ELi2ELi0EEEviiP15ncclDevWorkColl@rel32@hi+12
	s_mov_b64 s[8:9], s[94:95]
	s_mov_b32 s12, s93
	v_mov_b32_e32 v31, v40
	v_mov_b32_e32 v0, v41
	;; [unrolled: 1-line block ×3, first 2 shown]
	s_swappc_b64 s[30:31], s[2:3]
	s_branch .LBB7_2
.LBB7_8:
	scratch_load_dword v42, off, s33        ; 4-byte Folded Reload
	scratch_load_dword v41, off, s33 offset:4 ; 4-byte Folded Reload
	scratch_load_dword v40, off, s33 offset:8 ; 4-byte Folded Reload
	v_readlane_b32 s30, v43, 3
	v_readlane_b32 s31, v43, 4
	;; [unrolled: 1-line block ×5, first 2 shown]
	s_mov_b32 s32, s33
	v_readlane_b32 s0, v43, 5
	s_or_saveexec_b64 s[2:3], -1
	scratch_load_dword v43, off, s33 offset:12 ; 4-byte Folded Reload
	s_mov_b64 exec, s[2:3]
	s_mov_b32 s33, s0
	s_waitcnt vmcnt(0)
	s_setpc_b64 s[30:31]
.Lfunc_end7:
	.size	_Z42ncclDevFunc_Broadcast_RING_LL_Sum_i8_0_0_2v, .Lfunc_end7-_Z42ncclDevFunc_Broadcast_RING_LL_Sum_i8_0_0_2v
                                        ; -- End function
	.set .L_Z42ncclDevFunc_Broadcast_RING_LL_Sum_i8_0_0_2v.num_vgpr, max(44, .L_ZN12_GLOBAL__N_17runRingIa7FuncSumIaE7ProtoLLLi0ELi2ELi0EEEviiP15ncclDevWorkColl.num_vgpr)
	.set .L_Z42ncclDevFunc_Broadcast_RING_LL_Sum_i8_0_0_2v.num_agpr, max(0, .L_ZN12_GLOBAL__N_17runRingIa7FuncSumIaE7ProtoLLLi0ELi2ELi0EEEviiP15ncclDevWorkColl.num_agpr)
	.set .L_Z42ncclDevFunc_Broadcast_RING_LL_Sum_i8_0_0_2v.numbered_sgpr, max(96, .L_ZN12_GLOBAL__N_17runRingIa7FuncSumIaE7ProtoLLLi0ELi2ELi0EEEviiP15ncclDevWorkColl.numbered_sgpr)
	.set .L_Z42ncclDevFunc_Broadcast_RING_LL_Sum_i8_0_0_2v.num_named_barrier, max(0, .L_ZN12_GLOBAL__N_17runRingIa7FuncSumIaE7ProtoLLLi0ELi2ELi0EEEviiP15ncclDevWorkColl.num_named_barrier)
	.set .L_Z42ncclDevFunc_Broadcast_RING_LL_Sum_i8_0_0_2v.private_seg_size, 32+max(.L_ZN12_GLOBAL__N_17runRingIa7FuncSumIaE7ProtoLLLi0ELi2ELi0EEEviiP15ncclDevWorkColl.private_seg_size)
	.set .L_Z42ncclDevFunc_Broadcast_RING_LL_Sum_i8_0_0_2v.uses_vcc, or(1, .L_ZN12_GLOBAL__N_17runRingIa7FuncSumIaE7ProtoLLLi0ELi2ELi0EEEviiP15ncclDevWorkColl.uses_vcc)
	.set .L_Z42ncclDevFunc_Broadcast_RING_LL_Sum_i8_0_0_2v.uses_flat_scratch, or(0, .L_ZN12_GLOBAL__N_17runRingIa7FuncSumIaE7ProtoLLLi0ELi2ELi0EEEviiP15ncclDevWorkColl.uses_flat_scratch)
	.set .L_Z42ncclDevFunc_Broadcast_RING_LL_Sum_i8_0_0_2v.has_dyn_sized_stack, or(0, .L_ZN12_GLOBAL__N_17runRingIa7FuncSumIaE7ProtoLLLi0ELi2ELi0EEEviiP15ncclDevWorkColl.has_dyn_sized_stack)
	.set .L_Z42ncclDevFunc_Broadcast_RING_LL_Sum_i8_0_0_2v.has_recursion, or(1, .L_ZN12_GLOBAL__N_17runRingIa7FuncSumIaE7ProtoLLLi0ELi2ELi0EEEviiP15ncclDevWorkColl.has_recursion)
	.set .L_Z42ncclDevFunc_Broadcast_RING_LL_Sum_i8_0_0_2v.has_indirect_call, or(0, .L_ZN12_GLOBAL__N_17runRingIa7FuncSumIaE7ProtoLLLi0ELi2ELi0EEEviiP15ncclDevWorkColl.has_indirect_call)
	.section	.AMDGPU.csdata,"",@progbits
; Function info:
; codeLenInByte = 448
; TotalNumSgprs: 102
; NumVgprs: 120
; NumAgprs: 0
; TotalNumVgprs: 120
; ScratchSize: 44
; MemoryBound: 0
	.text
	.p2align	2                               ; -- Begin function _ZN12_GLOBAL__N_17runRingIa7FuncSumIaE11ProtoSimpleILi1ELi1ELi0ELi2ELi0ELi0EELi0ELi2ELi0EEEviiP15ncclDevWorkColl
	.type	_ZN12_GLOBAL__N_17runRingIa7FuncSumIaE11ProtoSimpleILi1ELi1ELi0ELi2ELi0ELi0EELi0ELi2ELi0EEEviiP15ncclDevWorkColl,@function
_ZN12_GLOBAL__N_17runRingIa7FuncSumIaE11ProtoSimpleILi1ELi1ELi0ELi2ELi0ELi0EELi0ELi2ELi0EEEviiP15ncclDevWorkColl: ; @_ZN12_GLOBAL__N_17runRingIa7FuncSumIaE11ProtoSimpleILi1ELi1ELi0ELi2ELi0ELi0EELi0ELi2ELi0EEEviiP15ncclDevWorkColl
; %bb.0:
	s_waitcnt vmcnt(0) expcnt(0) lgkmcnt(0)
	s_mov_b32 s0, s33
	s_mov_b32 s33, s32
	s_or_saveexec_b64 s[2:3], -1
	scratch_store_dword off, v77, s33 offset:84 ; 4-byte Folded Spill
	s_mov_b64 exec, s[2:3]
	v_writelane_b32 v77, s0, 24
	s_addk_i32 s32, 0x60
	scratch_store_dword off, v40, s33 offset:80 ; 4-byte Folded Spill
	scratch_store_dword off, v41, s33 offset:76 ; 4-byte Folded Spill
	;; [unrolled: 1-line block ×20, first 2 shown]
	scratch_store_dword off, v76, s33       ; 4-byte Folded Spill
	v_writelane_b32 v77, s34, 0
	v_writelane_b32 v77, s35, 1
	;; [unrolled: 1-line block ×23, first 2 shown]
	s_nop 1
	v_writelane_b32 v77, s31, 23
	s_trap 2
	ds_read_b64 v[4:5], v0
	flat_load_ushort v9, v[2:3] offset:8
	flat_load_dwordx2 v[16:17], v[2:3]
	ds_read_b32 v6, v0
                                        ; implicit-def: $vgpr36_vgpr37
                                        ; implicit-def: $vgpr14_vgpr15
	s_waitcnt lgkmcnt(0)
	flat_load_dwordx2 v[34:35], v[4:5]
                                        ; implicit-def: $vgpr4_vgpr5
	s_waitcnt vmcnt(0)
	v_mov_b32_e32 v8, v17
	v_cmp_ne_u32_sdwa s[0:1], v6, v16 src0_sel:DWORD src1_sel:BYTE_0
	s_and_saveexec_b64 s[2:3], s[0:1]
	s_xor_b64 s[0:1], exec, s[2:3]
	s_cbranch_execz .LBB8_6
; %bb.1:
	v_not_b32_sdwa v10, v16 dst_sel:DWORD dst_unused:UNUSED_PAD src0_sel:BYTE_0
	v_cmp_ne_u32_sdwa s[2:3], v6, v16 src0_sel:DWORD src1_sel:BYTE_1
                                        ; implicit-def: $vgpr36_vgpr37
                                        ; implicit-def: $vgpr4_vgpr5
                                        ; implicit-def: $vgpr14_vgpr15
	s_and_saveexec_b64 s[4:5], s[2:3]
	s_xor_b64 s[2:3], exec, s[4:5]
	s_cbranch_execz .LBB8_3
; %bb.2:
	flat_load_dwordx4 v[18:21], v[2:3] offset:72
	flat_load_dwordx2 v[4:5], v[2:3] offset:96
	v_add_u32_e32 v6, v6, v10
	v_ashrrev_i32_e32 v7, 31, v6
                                        ; implicit-def: $vgpr10
	s_waitcnt vmcnt(0) lgkmcnt(0)
	v_mul_lo_u32 v7, v20, v7
	v_mad_u64_u32 v[14:15], s[4:5], v20, v6, v[18:19]
	v_mul_lo_u32 v6, v21, v6
	v_lshrrev_b64 v[36:37], 21, v[4:5]
	v_add3_u32 v15, v6, v15, v7
	v_mov_b64_e32 v[4:5], v[20:21]
.LBB8_3:
	s_andn2_saveexec_b64 s[2:3], s[2:3]
	s_cbranch_execz .LBB8_5
; %bb.4:
	flat_load_dwordx4 v[18:21], v[2:3] offset:72
	flat_load_dwordx4 v[4:7], v[2:3] offset:88
	s_waitcnt vmcnt(0) lgkmcnt(0)
	v_add_u32_sdwa v6, v16, v10 dst_sel:DWORD dst_unused:UNUSED_PAD src0_sel:BYTE_1 src1_sel:DWORD
	v_ashrrev_i32_e32 v10, 31, v6
	v_mul_lo_u32 v10, v20, v10
	v_mad_u64_u32 v[14:15], s[4:5], v20, v6, v[18:19]
	v_mul_lo_u32 v6, v21, v6
	v_add3_u32 v15, v6, v15, v10
	v_lshrrev_b32_e32 v36, 10, v7
.LBB8_5:
	s_or_b64 exec, exec, s[2:3]
.LBB8_6:
	s_andn2_saveexec_b64 s[0:1], s[0:1]
	s_cbranch_execz .LBB8_8
; %bb.7:
	flat_load_dwordx2 v[4:5], v[2:3] offset:72
	flat_load_dwordx2 v[36:37], v[2:3] offset:96
	v_mov_b64_e32 v[14:15], 0
.LBB8_8:
	s_or_b64 exec, exec, s[0:1]
	flat_load_dwordx4 v[10:13], v[2:3] offset:16
	s_brev_b32 s0, 34
	v_and_b32_e32 v6, 0x44000000, v16
	v_cmp_eq_u32_e64 s[16:17], s0, v6
	s_waitcnt vmcnt(0) lgkmcnt(0)
	v_bfe_u32 v37, v8, 1, 30
	v_cndmask_b32_e64 v23, v1, 64, s[16:17]
	v_cmp_ge_i32_e32 vcc, v0, v23
	s_and_saveexec_b64 s[0:1], vcc
	s_xor_b64 s[2:3], exec, s[0:1]
	s_cbranch_execz .LBB8_38
; %bb.9:
	v_cmp_ne_u64_e32 vcc, v[12:13], v[10:11]
	v_cmp_eq_u32_e64 s[0:1], v34, v37
	s_and_b64 s[4:5], vcc, s[0:1]
	s_and_saveexec_b64 s[0:1], s[4:5]
	s_cbranch_execz .LBB8_37
; %bb.10:
	v_sub_u32_e32 v25, v0, v23
	v_ashrrev_i16_e32 v0, 15, v25
	v_lshrrev_b16_e32 v0, 10, v0
	v_add_u16_e32 v0, v25, v0
	v_and_b32_e32 v6, 0xffffffc0, v0
	v_sub_u16_e32 v22, v25, v6
	v_lshl_add_u64 v[2:3], v[12:13], 0, v[14:15]
	v_lshl_add_u64 v[8:9], v[10:11], 0, v[14:15]
	v_cmp_gt_i16_e32 vcc, 1, v22
	s_mov_b64 s[4:5], 0
	s_and_saveexec_b64 s[6:7], vcc
; %bb.11:
	v_bitop3_b32 v6, v2, 15, v8 bitop3:0xc8
	v_cmp_ne_u32_e32 vcc, 0, v6
	s_and_b64 s[4:5], vcc, exec
; %bb.12:
	s_or_b64 exec, exec, s[6:7]
	v_sub_u32_e32 v24, v1, v23
	v_cndmask_b32_e64 v1, 0, 1, s[4:5]
	v_cmp_ne_u32_e32 vcc, 0, v1
	s_cbranch_vccz .LBB8_14
; %bb.13:
	s_mov_b64 s[6:7], -1
	v_mov_b64_e32 v[0:1], 0
	s_and_b64 exec, exec, s[6:7]
	s_cbranch_execnz .LBB8_29
	s_branch .LBB8_37
.LBB8_14:
	v_ashrrev_i16_e32 v6, 6, v0
	v_ashrrev_i32_e32 v0, 31, v5
	v_lshrrev_b32_e32 v0, 20, v0
	v_mov_b32_e32 v1, 0
	v_lshl_add_u64 v[0:1], v[4:5], 0, v[0:1]
	v_ashrrev_i64 v[0:1], 12, v[0:1]
	v_bfe_i32 v16, v6, 0, 16
	v_ashrrev_i32_e32 v7, 31, v16
	v_sub_co_u32_e32 v6, vcc, v0, v16
	s_mov_b64 s[6:7], 0
	s_nop 0
	v_subb_co_u32_e32 v7, vcc, v1, v7, vcc
	v_cmp_lt_i64_e32 vcc, 0, v[6:7]
	s_and_saveexec_b64 s[4:5], vcc
	s_cbranch_execz .LBB8_18
; %bb.15:
	v_ashrrev_i16_e32 v18, 15, v24
	v_lshrrev_b16_e32 v18, 10, v18
	v_mov_b32_e32 v17, 4
	v_add_u16_e32 v18, v24, v18
	v_lshlrev_b32_sdwa v17, v17, sext(v22) dst_sel:DWORD dst_unused:UNUSED_PAD src0_sel:DWORD src1_sel:WORD_0
	v_ashrrev_i16_e32 v19, 6, v18
	v_mov_b32_e32 v20, 12
	v_lshl_add_u32 v16, v16, 12, v17
	v_bfe_i32 v18, v19, 0, 16
	v_lshlrev_b32_sdwa v20, v20, sext(v19) dst_sel:DWORD dst_unused:UNUSED_PAD src0_sel:DWORD src1_sel:WORD_0
	v_ashrrev_i32_e32 v17, 31, v16
	v_ashrrev_i32_e32 v19, 31, v18
	;; [unrolled: 1-line block ×3, first 2 shown]
.LBB8_16:                               ; =>This Inner Loop Header: Depth=1
	v_lshl_add_u64 v[38:39], v[16:17], 0, v[2:3]
	global_load_dwordx4 v[26:29], v[38:39], off nt
	global_load_dwordx4 v[30:33], v[38:39], off offset:1024 nt
	global_load_dwordx4 v[34:37], v[38:39], off offset:2048 nt
	;; [unrolled: 1-line block ×3, first 2 shown]
	v_sub_co_u32_e32 v6, vcc, v6, v18
	v_lshl_add_u64 v[38:39], v[16:17], 0, v[8:9]
	s_nop 0
	v_subb_co_u32_e32 v7, vcc, v7, v19, vcc
	v_cmp_gt_i64_e32 vcc, 1, v[6:7]
	v_lshl_add_u64 v[2:3], v[2:3], 0, v[20:21]
	v_lshl_add_u64 v[8:9], v[8:9], 0, v[20:21]
	s_or_b64 s[6:7], vcc, s[6:7]
	s_waitcnt vmcnt(3)
	global_store_dwordx4 v[38:39], v[26:29], off
	s_waitcnt vmcnt(3)
	global_store_dwordx4 v[38:39], v[30:33], off offset:1024
	s_waitcnt vmcnt(3)
	global_store_dwordx4 v[38:39], v[34:37], off offset:2048
	;; [unrolled: 2-line block ×3, first 2 shown]
	s_andn2_b64 exec, exec, s[6:7]
	s_cbranch_execnz .LBB8_16
; %bb.17:
	s_or_b64 exec, exec, s[6:7]
.LBB8_18:
	s_or_b64 exec, exec, s[4:5]
	v_lshlrev_b64 v[8:9], 12, v[0:1]
	v_cmp_ne_u64_e32 vcc, v[4:5], v[8:9]
	s_mov_b64 s[6:7], 0
	v_mov_b64_e32 v[0:1], 0
                                        ; implicit-def: $vgpr2_vgpr3
                                        ; implicit-def: $vgpr25
	s_and_saveexec_b64 s[4:5], vcc
	s_cbranch_execz .LBB8_28
; %bb.19:
	v_sub_co_u32_e32 v16, vcc, v4, v8
	v_mov_b32_e32 v21, 0
	s_nop 0
	v_subb_co_u32_e32 v17, vcc, v5, v9, vcc
	v_ashrrev_i32_e32 v0, 31, v17
	v_lshrrev_b32_e32 v20, 22, v0
	v_lshl_add_u64 v[2:3], v[16:17], 0, v[20:21]
	v_ashrrev_i64 v[18:19], 10, v[2:3]
	v_and_b32_e32 v2, 0xfffffc00, v2
	v_lshl_add_u64 v[0:1], v[2:3], 0, v[8:9]
	v_sub_co_u32_e32 v2, vcc, v16, v2
	s_nop 1
	v_subb_co_u32_e32 v3, vcc, v17, v3, vcc
	v_cmp_lt_i64_e32 vcc, 15, v[2:3]
	s_and_saveexec_b64 s[6:7], vcc
; %bb.20:
	v_and_b32_e32 v20, 15, v4
	v_sub_co_u32_e32 v2, vcc, v2, v20
	v_lshl_add_u64 v[18:19], v[18:19], 0, 1
	s_nop 0
	v_subbrev_co_u32_e32 v3, vcc, 0, v3, vcc
	v_lshl_add_u64 v[0:1], v[2:3], 0, v[0:1]
	v_mov_b64_e32 v[2:3], v[20:21]
; %bb.21:
	s_or_b64 exec, exec, s[6:7]
	v_lshlrev_b32_e32 v4, 6, v6
	v_sub_u32_sdwa v4, sext(v22), v4 dst_sel:DWORD dst_unused:UNUSED_PAD src0_sel:WORD_0 src1_sel:DWORD
	v_ashrrev_i32_e32 v5, 31, v4
	v_lshrrev_b32_e32 v5, 26, v5
	v_add_u32_e32 v5, v4, v5
	v_ashrrev_i32_e32 v23, 6, v5
	v_and_b32_e32 v5, 0xffffffc0, v5
	v_sub_u32_e32 v22, v4, v5
	v_lshlrev_b32_e32 v4, 4, v22
	v_lshl_add_u32 v20, v23, 10, v4
	v_ashrrev_i32_e32 v21, 31, v20
	v_sub_co_u32_e32 v6, vcc, v16, v20
	v_ashrrev_i32_e32 v5, 31, v23
	s_nop 0
	v_subb_co_u32_e32 v7, vcc, v17, v21, vcc
	v_sub_co_u32_e32 v4, vcc, v18, v23
	s_nop 1
	v_subb_co_u32_e32 v5, vcc, v19, v5, vcc
	v_cmp_lt_i64_e32 vcc, 15, v[6:7]
	s_and_saveexec_b64 s[6:7], vcc
	s_cbranch_execz .LBB8_25
; %bb.22:
	v_ashrrev_i16_e32 v16, 15, v24
	v_lshrrev_b16_e32 v16, 10, v16
	v_add_u16_e32 v16, v24, v16
	v_ashrrev_i16_e32 v17, 6, v16
	v_mov_b32_e32 v18, 10
	v_bfe_i32 v16, v17, 0, 16
	v_lshlrev_b32_sdwa v18, v18, sext(v17) dst_sel:DWORD dst_unused:UNUSED_PAD src0_sel:DWORD src1_sel:WORD_0
	v_lshl_add_u64 v[8:9], v[14:15], 0, v[8:9]
	v_ashrrev_i32_e32 v19, 31, v18
	v_ashrrev_i32_e32 v17, 31, v16
	v_lshl_add_u64 v[8:9], v[8:9], 0, v[20:21]
	s_mov_b64 s[10:11], 0
.LBB8_23:                               ; =>This Inner Loop Header: Depth=1
	v_lshl_add_u64 v[20:21], v[12:13], 0, v[8:9]
	global_load_dwordx4 v[26:29], v[20:21], off nt
	v_sub_co_u32_e32 v6, vcc, v6, v18
	v_lshl_add_u64 v[20:21], v[10:11], 0, v[8:9]
	s_nop 0
	v_subb_co_u32_e32 v7, vcc, v7, v19, vcc
	v_sub_co_u32_e32 v4, vcc, v4, v16
	v_lshl_add_u64 v[8:9], v[8:9], 0, v[18:19]
	s_nop 0
	v_subb_co_u32_e32 v5, vcc, v5, v17, vcc
	v_cmp_gt_i64_e32 vcc, 16, v[6:7]
	s_or_b64 s[10:11], vcc, s[10:11]
	s_waitcnt vmcnt(0)
	global_store_dwordx4 v[20:21], v[26:29], off
	s_andn2_b64 exec, exec, s[10:11]
	s_cbranch_execnz .LBB8_23
; %bb.24:
	s_or_b64 exec, exec, s[10:11]
.LBB8_25:
	s_or_b64 exec, exec, s[6:7]
	v_cmp_lt_i64_e32 vcc, 0, v[4:5]
	s_and_saveexec_b64 s[6:7], vcc
; %bb.26:
	v_ashrrev_i16_e32 v5, 15, v24
	v_lshrrev_b16_e32 v5, 10, v5
	v_add_u16_e32 v5, v24, v5
	v_ashrrev_i16_e32 v5, 6, v5
	v_bfe_i32 v5, v5, 0, 16
	v_sub_co_u32_e32 v4, vcc, v4, v5
; %bb.27:
	s_or_b64 exec, exec, s[6:7]
	v_lshlrev_b32_e32 v4, 6, v4
	v_cmp_ne_u64_e32 vcc, 0, v[2:3]
	v_sub_u32_e32 v25, v22, v4
	s_and_b64 s[6:7], vcc, exec
.LBB8_28:
	s_or_b64 exec, exec, s[4:5]
	v_mov_b64_e32 v[4:5], v[2:3]
	s_and_b64 exec, exec, s[6:7]
	s_cbranch_execz .LBB8_37
.LBB8_29:
	v_ashrrev_i32_e32 v2, 31, v25
	v_lshrrev_b32_e32 v2, 26, v2
	v_add_u32_e32 v8, v25, v2
	v_ashrrev_i32_e32 v2, 31, v5
	v_lshrrev_b32_e32 v2, 22, v2
	v_mov_b32_e32 v3, 0
	v_lshl_add_u64 v[2:3], v[4:5], 0, v[2:3]
	v_ashrrev_i32_e32 v26, 6, v8
	v_ashrrev_i64 v[6:7], 10, v[2:3]
	v_ashrrev_i32_e32 v3, 31, v26
	v_sub_co_u32_e32 v2, vcc, v6, v26
	s_mov_b64 s[6:7], 0
	s_nop 0
	v_subb_co_u32_e32 v3, vcc, v7, v3, vcc
	v_cmp_lt_i64_e32 vcc, 0, v[2:3]
	s_and_saveexec_b64 s[4:5], vcc
	s_cbranch_execz .LBB8_33
; %bb.30:
	v_ashrrev_i16_e32 v16, 15, v24
	v_lshrrev_b16_e32 v16, 10, v16
	v_and_b32_e32 v8, 0xffffffc0, v8
	v_add_u16_e32 v16, v24, v16
	v_sub_u32_e32 v8, v25, v8
	v_ashrrev_i16_e32 v17, 6, v16
	v_mov_b32_e32 v18, 10
	v_lshl_add_u32 v8, v26, 10, v8
	v_bfe_i32 v16, v17, 0, 16
	v_lshlrev_b32_sdwa v18, v18, sext(v17) dst_sel:DWORD dst_unused:UNUSED_PAD src0_sel:DWORD src1_sel:WORD_0
	v_lshl_add_u64 v[22:23], v[14:15], 0, v[0:1]
	v_ashrrev_i32_e32 v9, 31, v8
	v_ashrrev_i32_e32 v17, 31, v16
	;; [unrolled: 1-line block ×3, first 2 shown]
	v_lshl_add_u64 v[20:21], v[22:23], 0, v[12:13]
	v_lshl_add_u64 v[22:23], v[22:23], 0, v[10:11]
.LBB8_31:                               ; =>This Inner Loop Header: Depth=1
	v_lshl_add_u64 v[28:29], v[8:9], 0, v[20:21]
	flat_load_ubyte v27, v[28:29] nt
	flat_load_ubyte v30, v[28:29] offset:64 nt
	flat_load_ubyte v31, v[28:29] offset:128 nt
	flat_load_ubyte v32, v[28:29] offset:192 nt
	flat_load_ubyte v33, v[28:29] offset:256 nt
	flat_load_ubyte v34, v[28:29] offset:320 nt
	flat_load_ubyte v35, v[28:29] offset:384 nt
	flat_load_ubyte v36, v[28:29] offset:448 nt
	flat_load_ubyte v37, v[28:29] offset:512 nt
	flat_load_ubyte v38, v[28:29] offset:576 nt
	flat_load_ubyte v39, v[28:29] offset:640 nt
	flat_load_ubyte v48, v[28:29] offset:704 nt
	flat_load_ubyte v49, v[28:29] offset:768 nt
	flat_load_ubyte v50, v[28:29] offset:832 nt
	flat_load_ubyte v51, v[28:29] offset:896 nt
	flat_load_ubyte v52, v[28:29] offset:960 nt
	v_sub_co_u32_e32 v2, vcc, v2, v16
	v_lshl_add_u64 v[28:29], v[8:9], 0, v[22:23]
	s_nop 0
	v_subb_co_u32_e32 v3, vcc, v3, v17, vcc
	v_cmp_gt_i64_e32 vcc, 1, v[2:3]
	v_lshl_add_u64 v[20:21], v[20:21], 0, v[18:19]
	v_lshl_add_u64 v[22:23], v[22:23], 0, v[18:19]
	s_or_b64 s[6:7], vcc, s[6:7]
	s_waitcnt vmcnt(0) lgkmcnt(0)
	flat_store_byte v[28:29], v27 nt
	flat_store_byte v[28:29], v30 offset:64 nt
	flat_store_byte v[28:29], v31 offset:128 nt
	;; [unrolled: 1-line block ×15, first 2 shown]
	s_andn2_b64 exec, exec, s[6:7]
	s_cbranch_execnz .LBB8_31
; %bb.32:
	s_or_b64 exec, exec, s[6:7]
.LBB8_33:
	s_or_b64 exec, exec, s[4:5]
	v_lshlrev_b64 v[6:7], 10, v[6:7]
	v_cmp_ne_u64_e32 vcc, v[4:5], v[6:7]
	s_and_b64 exec, exec, vcc
	s_cbranch_execz .LBB8_37
; %bb.34:
	v_lshlrev_b32_e32 v3, 6, v26
	v_sub_u32_e32 v3, v25, v3
	v_lshlrev_b32_e32 v2, 6, v2
	v_sub_u32_e32 v8, v3, v2
	v_ashrrev_i32_e32 v9, 31, v8
	v_lshl_add_u64 v[2:3], v[6:7], 0, v[8:9]
	v_sub_co_u32_e32 v2, vcc, v4, v2
	s_mov_b64 s[4:5], 0
	s_nop 0
	v_subb_co_u32_e32 v3, vcc, v5, v3, vcc
	v_cmp_lt_i64_e32 vcc, 0, v[2:3]
	s_and_b64 exec, exec, vcc
	s_cbranch_execz .LBB8_37
; %bb.35:
	v_ashrrev_i16_e32 v4, 15, v24
	v_lshrrev_b16_e32 v4, 10, v4
	v_add_u16_e32 v4, v24, v4
	v_ashrrev_i16_e32 v4, 6, v4
	v_mov_b32_e32 v5, 6
	v_lshl_add_u64 v[0:1], v[14:15], 0, v[0:1]
	v_lshlrev_b32_sdwa v4, v5, sext(v4) dst_sel:DWORD dst_unused:UNUSED_PAD src0_sel:DWORD src1_sel:WORD_0
	v_lshl_add_u64 v[0:1], v[0:1], 0, v[6:7]
	v_ashrrev_i32_e32 v5, 31, v4
	v_lshl_add_u64 v[0:1], v[0:1], 0, v[8:9]
.LBB8_36:                               ; =>This Inner Loop Header: Depth=1
	v_lshl_add_u64 v[6:7], v[12:13], 0, v[0:1]
	flat_load_ubyte v8, v[6:7] nt
	v_sub_co_u32_e32 v2, vcc, v2, v4
	v_lshl_add_u64 v[6:7], v[10:11], 0, v[0:1]
	s_nop 0
	v_subb_co_u32_e32 v3, vcc, v3, v5, vcc
	v_cmp_gt_i64_e32 vcc, 1, v[2:3]
	v_lshl_add_u64 v[0:1], v[0:1], 0, v[4:5]
	s_or_b64 s[4:5], vcc, s[4:5]
	s_waitcnt vmcnt(0) lgkmcnt(0)
	flat_store_byte v[6:7], v8 nt
	s_andn2_b64 exec, exec, s[4:5]
	s_cbranch_execnz .LBB8_36
.LBB8_37:
	s_or_b64 exec, exec, s[0:1]
                                        ; implicit-def: $vgpr36_vgpr37
                                        ; implicit-def: $vgpr34_vgpr35
                                        ; implicit-def: $vgpr14_vgpr15
                                        ; implicit-def: $vgpr4_vgpr5
                                        ; implicit-def: $vgpr23
                                        ; implicit-def: $vgpr0
                                        ; implicit-def: $vgpr31
                                        ; implicit-def: $vgpr12_vgpr13
                                        ; implicit-def: $vgpr8_vgpr9
                                        ; implicit-def: $vgpr2_vgpr3
                                        ; implicit-def: $vgpr37
.LBB8_38:
	s_andn2_saveexec_b64 s[46:47], s[2:3]
	s_cbranch_execz .LBB8_1037
; %bb.39:
	s_trap 2
	ds_read_b64 v[6:7], v0
	s_waitcnt lgkmcnt(0)
	v_cmp_ne_u32_e32 vcc, -1, v6
	s_nop 1
	v_cndmask_b32_e64 v80, 0, 1, vcc
	v_cmp_ne_u32_e32 vcc, -1, v7
	s_nop 1
	v_addc_co_u32_e64 v1, s[0:1], 0, v80, vcc
	v_lshlrev_b32_e32 v6, 1, v1
	v_cmp_le_u32_e64 s[0:1], v6, v23
	s_and_saveexec_b64 s[2:3], s[0:1]
	s_xor_b64 s[56:57], exec, s[2:3]
	s_cbranch_execz .LBB8_1034
; %bb.40:
	flat_load_dwordx2 v[26:27], v[2:3] offset:104
	s_trap 2
	s_load_dword s0, s[8:9], 0x0
	v_mov_b32_e32 v6, 0
	v_mov_b32_e32 v114, 4
	s_waitcnt lgkmcnt(0)
	s_cmp_lt_u32 s12, s0
	s_cselect_b32 s0, 12, 18
	s_add_u32 s0, s8, s0
	s_addc_u32 s1, s9, 0
	global_load_ushort v30, v6, s[0:1]
	ds_read_b32 v6, v0
	v_cmp_ge_i32_e64 s[0:1], v0, v80
	s_waitcnt lgkmcnt(0)
	v_readfirstlane_b32 s18, v6
	s_and_saveexec_b64 s[2:3], s[0:1]
	s_cbranch_execz .LBB8_50
; %bb.41:
	v_cmp_ge_u32_e64 s[0:1], v0, v1
                                        ; implicit-def: $vgpr114
	s_and_saveexec_b64 s[4:5], s[0:1]
	s_xor_b64 s[0:1], exec, s[4:5]
	s_cbranch_execz .LBB8_47
; %bb.42:
	v_cndmask_b32_e64 v6, 0, 1, vcc
	v_sub_u32_e32 v6, v23, v6
	v_cmp_ge_u32_e32 vcc, v0, v6
	s_and_saveexec_b64 s[4:5], vcc
	s_xor_b64 s[4:5], exec, s[4:5]
; %bb.43:
                                        ; implicit-def: $vgpr1
; %bb.44:
	s_or_saveexec_b64 s[4:5], s[4:5]
	v_mov_b32_e32 v114, 16
	s_xor_b64 exec, exec, s[4:5]
; %bb.45:
	v_sub_u32_e32 v1, v23, v1
	v_cmp_lt_i32_e32 vcc, v0, v1
	s_nop 1
	v_cndmask_b32_e64 v114, 32, 0, vcc
; %bb.46:
	s_or_b64 exec, exec, s[4:5]
.LBB8_47:
	s_andn2_saveexec_b64 s[0:1], s[0:1]
; %bb.48:
	v_mov_b32_e32 v114, 8
; %bb.49:
	s_or_b64 exec, exec, s[0:1]
.LBB8_50:
	s_or_b64 exec, exec, s[2:3]
	v_and_b32_e32 v1, 36, v114
	v_cmp_ne_u32_e32 vcc, 0, v1
	v_mov_b32_e32 v38, -1
	s_and_saveexec_b64 s[0:1], vcc
	s_cbranch_execz .LBB8_52
; %bb.51:
	s_trap 2
	ds_read_b32 v38, v0
.LBB8_52:
	s_or_b64 exec, exec, s[0:1]
	v_and_b32_e32 v1, 24, v114
	v_cmp_ne_u32_e64 s[0:1], 0, v1
	s_and_saveexec_b64 s[2:3], s[0:1]
	s_cbranch_execz .LBB8_54
; %bb.53:
	s_trap 2
	s_waitcnt lgkmcnt(0)
	ds_read_b32 v38, v0
.LBB8_54:
	s_or_b64 exec, exec, s[2:3]
	v_lshrrev_b64 v[6:7], 31, v[8:9]
	v_and_b32_e32 v1, 3, v6
	v_mov_b64_e32 v[18:19], 0
	v_mov_b64_e32 v[6:7], 0
                                        ; implicit-def: $vgpr16_vgpr17
                                        ; implicit-def: $vgpr22
                                        ; implicit-def: $vgpr24_vgpr25
                                        ; implicit-def: $vgpr32_vgpr33
                                        ; implicit-def: $vgpr20_vgpr21
	s_and_saveexec_b64 s[0:1], vcc
	s_cbranch_execz .LBB8_64
; %bb.55:
	s_trap 2
	ds_read_b64 v[6:7], v0
	s_waitcnt lgkmcnt(0)
	v_ashrrev_i32_e32 v39, 31, v38
	v_and_b32_e32 v8, 0xffff, v1
	s_movk_i32 s2, 0xa8
                                        ; implicit-def: $vgpr16_vgpr17
	v_lshl_add_u64 v[6:7], v[38:39], 3, v[6:7]
	flat_load_dwordx2 v[6:7], v[6:7]
	s_waitcnt vmcnt(0) lgkmcnt(0)
	v_mad_u64_u32 v[28:29], s[2:3], v8, s2, v[6:7]
	flat_load_dword v6, v[28:29] offset:640
	s_waitcnt vmcnt(0) lgkmcnt(0)
	v_cmp_eq_u32_e32 vcc, 1, v6
	s_and_saveexec_b64 s[2:3], vcc
	s_cbranch_execz .LBB8_57
; %bb.56:
	flat_load_dwordx2 v[16:17], v[28:29] offset:648
	v_or_b32_e32 v114, 0x2000, v114
	s_waitcnt vmcnt(0) lgkmcnt(0)
	flat_load_dwordx2 v[6:7], v[16:17]
	s_trap 2
	s_waitcnt vmcnt(0) lgkmcnt(0)
	ds_write_b64 v0, v[6:7]
	flat_load_dwordx2 v[6:7], v[16:17] offset:8
	s_waitcnt vmcnt(0) lgkmcnt(0)
	ds_write_b64 v0, v[6:7]
	flat_load_dwordx2 v[6:7], v[16:17] offset:16
	s_waitcnt vmcnt(0) lgkmcnt(0)
	ds_write_b64 v0, v[6:7]
.LBB8_57:
	s_or_b64 exec, exec, s[2:3]
	flat_load_dwordx2 v[8:9], v[28:29] offset:608
	v_and_b32_e32 v6, 32, v114
	v_cmp_ne_u32_e32 vcc, 0, v6
                                        ; implicit-def: $vgpr20_vgpr21
	s_and_saveexec_b64 s[2:3], vcc
	s_cbranch_execz .LBB8_59
; %bb.58:
	flat_load_dwordx2 v[20:21], v[28:29] offset:560
	s_waitcnt vmcnt(0) lgkmcnt(0)
	flat_store_dwordx2 v[20:21], v[8:9] sc0 sc1
.LBB8_59:
	s_or_b64 exec, exec, s[2:3]
	s_mov_b64 s[2:3], 0x1f8
	v_and_b32_e32 v6, 4, v114
	v_lshl_add_u64 v[18:19], v[28:29], 0, s[2:3]
	v_cmp_ne_u32_e32 vcc, 0, v6
	v_mov_b64_e32 v[6:7], 0
                                        ; implicit-def: $vgpr22
                                        ; implicit-def: $vgpr24_vgpr25
                                        ; implicit-def: $vgpr32_vgpr33
	s_and_saveexec_b64 s[2:3], vcc
	s_cbranch_execz .LBB8_63
; %bb.60:
	v_and_b32_e32 v6, 0x800, v114
	v_cmp_eq_u32_e32 vcc, 0, v6
	s_and_saveexec_b64 s[4:5], vcc
	s_cbranch_execz .LBB8_62
; %bb.61:
	s_trap 2
	ds_write_b64 v0, v[18:19]
.LBB8_62:
	s_or_b64 exec, exec, s[4:5]
	flat_load_dwordx2 v[20:21], v[28:29] offset:552
	s_waitcnt vmcnt(0) lgkmcnt(0)
	flat_load_dwordx2 v[32:33], v[20:21] sc0 sc1
	flat_load_dwordx2 v[6:7], v[28:29] offset:600
	flat_load_dword v22, v[28:29] offset:576
	flat_load_dwordx2 v[24:25], v[28:29] offset:520
	v_or_b32_e32 v28, 0x100, v114
	s_waitcnt vmcnt(0) lgkmcnt(0)
	v_cmp_eq_u64_e32 vcc, 0, v[6:7]
	s_nop 1
	v_cndmask_b32_e32 v114, v28, v114, vcc
.LBB8_63:
	s_or_b64 exec, exec, s[2:3]
.LBB8_64:
	s_or_b64 exec, exec, s[0:1]
	v_and_b32_e32 v28, 24, v114
	v_cmp_ne_u32_e32 vcc, 0, v28
                                        ; implicit-def: $vgpr28_vgpr29
	s_and_saveexec_b64 s[0:1], vcc
	s_cbranch_execz .LBB8_72
; %bb.65:
	s_trap 2
	ds_read_b64 v[6:7], v0
	s_waitcnt lgkmcnt(0)
	v_ashrrev_i32_e32 v39, 31, v38
	v_and_b32_e32 v1, 0xffff, v1
	s_movk_i32 s2, 0xa8
                                        ; implicit-def: $vgpr28_vgpr29
	v_lshl_add_u64 v[6:7], v[38:39], 3, v[6:7]
	flat_load_dwordx2 v[6:7], v[6:7]
	s_waitcnt vmcnt(0) lgkmcnt(0)
	v_mad_u64_u32 v[18:19], s[2:3], v1, s2, v[6:7]
	flat_load_dwordx4 v[6:9], v[18:19] offset:96
	v_or_b32_e32 v1, 0x100, v114
	s_waitcnt vmcnt(0) lgkmcnt(0)
	v_cmp_eq_u64_e32 vcc, 0, v[6:7]
	s_nop 1
	v_cndmask_b32_e32 v114, v1, v114, vcc
	v_and_b32_e32 v1, 16, v114
	v_cmp_ne_u32_e32 vcc, 0, v1
	s_and_saveexec_b64 s[2:3], vcc
	s_cbranch_execz .LBB8_67
; %bb.66:
	flat_load_dwordx2 v[20:21], v[18:19] offset:48
	flat_load_dwordx2 v[28:29], v[18:19] offset:120
	;; [unrolled: 1-line block ×3, first 2 shown]
.LBB8_67:
	s_or_b64 exec, exec, s[2:3]
	v_and_b32_e32 v1, 8, v114
	v_cmp_ne_u32_e32 vcc, 0, v1
	s_and_saveexec_b64 s[2:3], vcc
	s_cbranch_execz .LBB8_71
; %bb.68:
	v_and_b32_e32 v1, 0x800, v114
	v_cmp_eq_u32_e32 vcc, 0, v1
	s_and_saveexec_b64 s[4:5], vcc
	s_cbranch_execz .LBB8_70
; %bb.69:
	s_trap 2
	ds_write_b64 v0, v[18:19]
.LBB8_70:
	s_or_b64 exec, exec, s[4:5]
	s_waitcnt vmcnt(0) lgkmcnt(0)
	flat_load_dwordx2 v[20:21], v[18:19] offset:56
	s_waitcnt vmcnt(0) lgkmcnt(0)
	flat_load_dwordx2 v[32:33], v[20:21] sc0 sc1
	flat_load_dword v22, v[18:19] offset:72
	flat_load_dwordx2 v[24:25], v[18:19] offset:16
.LBB8_71:
	s_or_b64 exec, exec, s[2:3]
.LBB8_72:
	s_or_b64 exec, exec, s[0:1]
	v_cmp_eq_u32_e64 s[0:1], 0, v0
	s_and_saveexec_b64 s[2:3], s[0:1]
	s_cbranch_execz .LBB8_74
; %bb.73:
	s_waitcnt lgkmcnt(0)
	flat_load_dwordx2 v[38:39], v[2:3] offset:32
	v_mov_b32_e32 v48, v12
	v_mov_b32_e32 v49, v13
	;; [unrolled: 1-line block ×4, first 2 shown]
	ds_write2_b64 v0, v[48:49], v[50:51] offset1:1
	s_trap 2
	s_waitcnt vmcnt(0) lgkmcnt(0)
	ds_write_b64 v0, v[38:39]
	ds_write_b64 v0, v[26:27]
.LBB8_74:
	s_or_b64 exec, exec, s[2:3]
	s_waitcnt vmcnt(0)
	v_mov_b64_e32 v[26:27], 0
	v_cmp_ne_u64_e32 vcc, 0, v[4:5]
	s_trap 2
	s_and_saveexec_b64 s[58:59], vcc
	s_cbranch_execz .LBB8_1000
; %bb.75:
	flat_load_dword v2, v[2:3] offset:4
	s_waitcnt lgkmcnt(0)
	v_lshlrev_b32_e32 v38, 9, v36
	v_ashrrev_i32_e32 v50, 31, v0
	v_cvt_f64_u32_e32 v[48:49], 0
	v_and_b32_e32 v38, 0x3ffffe00, v38
	v_lshrrev_b32_e32 v53, 26, v50
	s_ashr_i32 s19, s18, 31
	v_cmp_ne_u64_e32 vcc, v[12:13], v[10:11]
	v_ldexp_f64 v[10:11], v[48:49], 32
	v_cvt_f64_u32_e32 v[12:13], v38
	v_add_u32_e32 v65, v0, v53
	v_cmp_ne_u32_e64 s[2:3], v34, v37
	v_lshrrev_b32_e32 v34, 6, v23
	s_lshr_b32 s19, s19, 24
	v_add_f64 v[66:67], v[10:11], v[12:13]
	v_ashrrev_i32_e32 v119, 6, v65
	v_and_b32_e32 v10, 0xffffffc0, v65
	v_and_b32_e32 v115, 0x3fc0, v23
	s_xor_b64 s[20:21], s[16:17], -1
	v_lshlrev_b32_e32 v50, 10, v34
	s_add_i32 s18, s18, s19
	v_sub_u32_e32 v40, v0, v10
	v_lshlrev_b32_e32 v10, 11, v119
	v_subrev_u32_e32 v52, 64, v115
	s_and_b64 s[76:77], s[20:21], vcc
	v_add_u32_e32 v64, 0xfffffc00, v50
	s_ashr_i32 s70, s18, 8
	v_cmp_lt_i32_e64 s[18:19], v40, v80
	v_cmp_le_i32_e64 s[20:21], v40, v80
	v_lshl_add_u32 v80, v40, 4, v10
	v_mov_b32_e32 v3, 0
	v_cmp_ne_u32_e64 s[4:5], v35, v37
	v_and_b32_e32 v35, 63, v31
	s_mov_b64 s[62:63], 0x400
	v_ashrrev_i32_e32 v53, 31, v52
	v_ashrrev_i32_e32 v65, 31, v64
	v_add_u32_e32 v82, v80, v10
	v_ashrrev_i32_e32 v1, 31, v22
	v_cmp_eq_u32_e64 s[6:7], 64, v23
	v_cmp_ne_u32_e64 s[10:11], 64, v23
	v_cmp_ne_u32_sdwa s[60:61], v23, v30 src0_sel:DWORD src1_sel:WORD_0
	s_movk_i32 s68, 0xffc0
	s_mov_b64 s[72:73], 0
	v_cmp_eq_u64_e64 s[12:13], 0, v[28:29]
	v_cmp_ne_u64_e64 s[14:15], 0, v[28:29]
	v_mov_b64_e32 v[36:37], 0
	v_mov_b64_e32 v[26:27], 0
	s_movk_i32 s69, 0x108
	v_mov_b32_e32 v116, 1
	s_mov_b64 s[74:75], 0x3c0
	v_mov_b32_e32 v117, 0xd0
	v_mov_b32_e32 v118, 0x88
	;; [unrolled: 1-line block ×3, first 2 shown]
	v_cmp_eq_u32_e64 s[16:17], 0, v35
	v_mov_b32_e32 v35, v3
	v_lshlrev_b32_e32 v48, 11, v34
	v_mov_b32_e32 v49, v3
	v_mov_b32_e32 v51, v3
	v_lshlrev_b32_e32 v54, 12, v34
	v_mov_b32_e32 v55, v3
	v_mov_b32_e32 v56, v3
	v_lshl_add_u64 v[68:69], v[52:53], 0, 64
	v_lshl_add_u64 v[70:71], v[64:65], 0, s[62:63]
	v_cmp_gt_i32_e64 s[22:23], 1, v40
	v_ashrrev_i32_e32 v81, 31, v80
	v_ashrrev_i32_e32 v83, 31, v82
	v_mov_b32_e32 v57, v3
	s_trap 2
	s_waitcnt vmcnt(0)
	v_and_b32_e32 v2, 1, v2
	v_cmp_eq_u32_e64 s[24:25], 1, v2
	s_xor_b64 s[78:79], s[24:25], -1
	s_branch .LBB8_77
.LBB8_76:                               ;   in Loop: Header=BB8_77 Depth=1
	s_or_b64 exec, exec, s[26:27]
	v_lshl_add_u64 v[36:37], v[36:37], 0, v[38:39]
	v_cmp_ge_u64_e32 vcc, v[36:37], v[4:5]
	s_or_b64 s[72:73], vcc, s[72:73]
	s_andn2_b64 exec, exec, s[72:73]
	s_cbranch_execz .LBB8_999
.LBB8_77:                               ; =>This Loop Header: Depth=1
                                        ;     Child Loop BB8_96 Depth 2
                                        ;     Child Loop BB8_131 Depth 2
	;; [unrolled: 1-line block ×9, first 2 shown]
                                        ;       Child Loop BB8_220 Depth 3
                                        ;     Child Loop BB8_230 Depth 2
                                        ;     Child Loop BB8_235 Depth 2
                                        ;       Child Loop BB8_236 Depth 3
                                        ;     Child Loop BB8_281 Depth 2
                                        ;     Child Loop BB8_389 Depth 2
	;; [unrolled: 1-line block ×26, first 2 shown]
                                        ;       Child Loop BB8_308 Depth 3
                                        ;     Child Loop BB8_318 Depth 2
                                        ;     Child Loop BB8_323 Depth 2
                                        ;       Child Loop BB8_324 Depth 3
                                        ;     Child Loop BB8_370 Depth 2
                                        ;     Child Loop BB8_408 Depth 2
	;; [unrolled: 1-line block ×17, first 2 shown]
	v_sub_co_u32_e32 v2, vcc, v4, v36
	v_cvt_f64_u32_e32 v[84:85], v2
	s_nop 0
	v_subb_co_u32_e32 v12, vcc, v5, v37, vcc
	v_cvt_f64_u32_e32 v[12:13], v12
	v_ldexp_f64 v[12:13], v[12:13], 32
	v_add_f64 v[12:13], v[12:13], v[84:85]
	v_max_f64 v[84:85], v[66:67], v[66:67]
	v_min_f64 v[12:13], v[84:85], v[12:13]
	v_cvt_i32_f64_e32 v2, v[12:13]
	v_max_i32_e32 v41, 0, v2
	v_add_u32_e32 v12, 15, v41
	v_ashrrev_i32_e32 v13, 31, v12
	v_lshrrev_b32_e32 v13, 28, v13
	v_add_u32_e32 v12, v12, v13
	v_and_b32_e32 v12, -16, v12
	v_lshl_add_u64 v[10:11], v[36:37], 0, v[14:15]
	v_max_i32_e32 v84, s70, v12
	v_cmp_gt_i32_e64 s[26:27], 1, v2
	v_cmp_lt_i32_e64 s[28:29], 0, v2
	s_mov_b64 s[88:89], 0
	s_and_saveexec_b64 s[40:41], s[2:3]
	s_xor_b64 s[90:91], exec, s[40:41]
	s_cbranch_execz .LBB8_85
; %bb.78:                               ;   in Loop: Header=BB8_77 Depth=1
	s_mov_b64 s[42:43], 0
	s_and_saveexec_b64 s[40:41], s[4:5]
	s_xor_b64 s[88:89], exec, s[40:41]
	s_cbranch_execz .LBB8_566
; %bb.79:                               ;   in Loop: Header=BB8_77 Depth=1
	v_mov_b32_e32 v2, 0
	s_and_saveexec_b64 s[92:93], s[28:29]
	s_cbranch_execz .LBB8_424
; %bb.80:                               ;   in Loop: Header=BB8_77 Depth=1
	s_and_saveexec_b64 s[40:41], s[0:1]
	s_cbranch_execz .LBB8_82
; %bb.81:                               ;   in Loop: Header=BB8_77 Depth=1
	s_trap 2
	ds_read_b128 v[96:99], v0
	s_waitcnt lgkmcnt(0)
	v_lshl_add_u64 v[12:13], v[96:97], 0, v[10:11]
	v_lshl_add_u64 v[10:11], v[98:99], 0, v[10:11]
	v_cmp_ne_u64_e32 vcc, 0, v[98:99]
	ds_write_b64 v0, v[12:13]
	s_nop 0
	v_cndmask_b32_e32 v11, 0, v11, vcc
	v_cndmask_b32_e32 v10, 0, v10, vcc
	ds_write_b64 v0, v[10:11]
.LBB8_82:                               ;   in Loop: Header=BB8_77 Depth=1
	s_or_b64 exec, exec, s[40:41]
	v_and_b32_e32 v2, 12, v114
	v_min_i32_e32 v84, v84, v41
	v_cmp_ne_u32_e32 vcc, 0, v2
	s_and_saveexec_b64 s[42:43], vcc
	s_cbranch_execz .LBB8_123
; %bb.83:                               ;   in Loop: Header=BB8_77 Depth=1
	v_and_b32_e32 v2, 8, v114
	s_waitcnt vmcnt(0) lgkmcnt(0)
	v_lshl_add_u64 v[12:13], v[32:33], 0, v[2:3]
	v_lshl_add_u64 v[10:11], v[8:9], 0, 1
	v_cmp_lt_u64_e32 vcc, v[12:13], v[10:11]
	s_and_saveexec_b64 s[44:45], vcc
	s_cbranch_execz .LBB8_110
; %bb.84:                               ;   in Loop: Header=BB8_77 Depth=1
	v_and_b32_e32 v9, 64, v114
	s_mov_b32 s64, 0
	v_cmp_eq_u32_e32 vcc, 0, v9
	s_mov_b64 s[94:95], 0
                                        ; implicit-def: $sgpr30_sgpr31
                                        ; implicit-def: $sgpr34_sgpr35
                                        ; implicit-def: $sgpr36_sgpr37
	s_branch .LBB8_96
.LBB8_85:                               ;   in Loop: Header=BB8_77 Depth=1
	s_andn2_saveexec_b64 s[90:91], s[90:91]
	s_cbranch_execz .LBB8_997
.LBB8_86:                               ;   in Loop: Header=BB8_77 Depth=1
	s_mov_b64 s[42:43], 0
	s_mov_b64 s[40:41], s[88:89]
	s_and_saveexec_b64 s[44:45], s[76:77]
	s_xor_b64 s[92:93], exec, s[44:45]
	s_cbranch_execz .LBB8_615
; %bb.87:                               ;   in Loop: Header=BB8_77 Depth=1
	v_mov_b32_e32 v2, 0
	s_and_saveexec_b64 s[94:95], s[28:29]
	s_cbranch_execz .LBB8_478
; %bb.88:                               ;   in Loop: Header=BB8_77 Depth=1
	s_and_saveexec_b64 s[40:41], s[0:1]
	s_cbranch_execz .LBB8_90
; %bb.89:                               ;   in Loop: Header=BB8_77 Depth=1
	s_trap 2
	ds_read2_b64 v[96:99], v0 offset1:1
	ds_read_b64 v[12:13], v0
	s_waitcnt lgkmcnt(0)
	v_lshl_add_u64 v[86:87], v[96:97], 0, v[10:11]
	v_lshl_add_u64 v[96:97], v[98:99], 0, v[10:11]
	v_lshl_add_u64 v[10:11], v[12:13], 0, v[10:11]
	v_cmp_ne_u64_e32 vcc, 0, v[12:13]
	ds_write_b64 v0, v[86:87]
	ds_write_b64 v0, v[96:97]
	v_cndmask_b32_e32 v11, 0, v11, vcc
	v_cndmask_b32_e32 v10, 0, v10, vcc
	ds_write_b64 v0, v[10:11]
.LBB8_90:                               ;   in Loop: Header=BB8_77 Depth=1
	s_or_b64 exec, exec, s[40:41]
	v_and_b32_e32 v2, 8, v114
	v_min_i32_e32 v84, v84, v41
	v_cmp_ne_u32_e32 vcc, 0, v2
	s_and_saveexec_b64 s[42:43], vcc
	s_cbranch_execz .LBB8_147
; %bb.91:                               ;   in Loop: Header=BB8_77 Depth=1
	s_waitcnt vmcnt(0) lgkmcnt(0)
	v_lshl_add_u64 v[12:13], v[32:33], 0, 8
	v_lshl_add_u64 v[10:11], v[8:9], 0, 1
	v_cmp_lt_u64_e32 vcc, v[12:13], v[10:11]
	s_and_saveexec_b64 s[44:45], vcc
	s_cbranch_execz .LBB8_138
; %bb.92:                               ;   in Loop: Header=BB8_77 Depth=1
	v_and_b32_e32 v2, 64, v114
	s_mov_b32 s66, 0
	v_cmp_eq_u32_e32 vcc, 0, v2
	s_mov_b64 s[30:31], 0
                                        ; implicit-def: $sgpr34_sgpr35
                                        ; implicit-def: $sgpr36_sgpr37
                                        ; implicit-def: $sgpr38_sgpr39
	s_branch .LBB8_103
.LBB8_93:                               ;   in Loop: Header=BB8_96 Depth=2
	s_waitcnt vmcnt(0) lgkmcnt(0)
	v_lshl_add_u64 v[12:13], v[32:33], 0, v[2:3]
	v_cmp_ge_u64_e64 s[40:41], v[12:13], v[10:11]
	s_or_b64 s[50:51], s[50:51], exec
	s_orn2_b64 s[48:49], s[40:41], exec
.LBB8_94:                               ;   in Loop: Header=BB8_96 Depth=2
	s_or_b64 exec, exec, s[54:55]
	s_andn2_b64 s[40:41], s[36:37], exec
	s_and_b64 s[36:37], s[50:51], exec
	s_or_b64 s[36:37], s[40:41], s[36:37]
	s_andn2_b64 s[40:41], s[34:35], exec
	s_and_b64 s[34:35], s[48:49], exec
	s_or_b64 s[34:35], s[40:41], s[34:35]
.LBB8_95:                               ;   in Loop: Header=BB8_96 Depth=2
	s_or_b64 exec, exec, s[38:39]
	s_and_b64 s[40:41], exec, s[34:35]
	s_or_b64 s[94:95], s[40:41], s[94:95]
	s_andn2_b64 s[40:41], s[30:31], exec
	s_and_b64 s[30:31], s[36:37], exec
	s_or_b64 s[30:31], s[40:41], s[30:31]
	s_andn2_b64 exec, exec, s[94:95]
	s_cbranch_execz .LBB8_107
.LBB8_96:                               ;   Parent Loop BB8_77 Depth=1
                                        ; =>  This Inner Loop Header: Depth=2
	s_sleep 1
	s_waitcnt vmcnt(0) lgkmcnt(0)
	flat_load_dwordx2 v[32:33], v[20:21] sc0 sc1
	s_or_b64 s[36:37], s[36:37], exec
	s_or_b64 s[34:35], s[34:35], exec
                                        ; implicit-def: $vgpr9
	s_and_saveexec_b64 s[38:39], vcc
	s_cbranch_execz .LBB8_95
; %bb.97:                               ;   in Loop: Header=BB8_96 Depth=2
	s_cmpk_lt_i32 s64, 0x270f
	s_cselect_b64 s[52:53], -1, 0
	s_cmpk_gt_i32 s64, 0x270e
	s_mov_b64 s[48:49], -1
	s_cbranch_scc0 .LBB8_99
; %bb.98:                               ;   in Loop: Header=BB8_96 Depth=2
	s_trap 2
	ds_read_b64 v[12:13], v0
	s_andn2_b64 s[52:53], s[52:53], exec
	s_mov_b32 s64, 0
	s_mov_b64 s[50:51], 0
	s_waitcnt vmcnt(0) lgkmcnt(0)
	flat_load_dword v9, v[12:13] sc0 sc1
	s_waitcnt vmcnt(0) lgkmcnt(0)
	buffer_inv sc0 sc1
	v_cmp_eq_u32_e64 s[40:41], 0, v9
	s_and_b64 s[40:41], s[40:41], exec
	s_or_b64 s[52:53], s[52:53], s[40:41]
	s_and_saveexec_b64 s[54:55], s[52:53]
	s_cbranch_execz .LBB8_94
	s_branch .LBB8_93
.LBB8_99:                               ;   in Loop: Header=BB8_96 Depth=2
	s_add_i32 s64, s64, 1
	s_mov_b64 s[50:51], -1
                                        ; implicit-def: $vgpr9
	s_and_saveexec_b64 s[54:55], s[52:53]
	s_cbranch_execz .LBB8_94
	s_branch .LBB8_93
.LBB8_100:                              ;   in Loop: Header=BB8_103 Depth=2
	s_waitcnt vmcnt(0) lgkmcnt(0)
	v_lshl_add_u64 v[12:13], v[32:33], 0, 8
	v_cmp_ge_u64_e64 s[40:41], v[12:13], v[10:11]
	s_or_b64 s[52:53], s[52:53], exec
	s_orn2_b64 s[50:51], s[40:41], exec
.LBB8_101:                              ;   in Loop: Header=BB8_103 Depth=2
	s_or_b64 exec, exec, s[64:65]
	s_andn2_b64 s[40:41], s[38:39], exec
	s_and_b64 s[38:39], s[52:53], exec
	s_or_b64 s[38:39], s[40:41], s[38:39]
	s_andn2_b64 s[40:41], s[36:37], exec
	s_and_b64 s[36:37], s[50:51], exec
	s_or_b64 s[36:37], s[40:41], s[36:37]
.LBB8_102:                              ;   in Loop: Header=BB8_103 Depth=2
	s_or_b64 exec, exec, s[48:49]
	s_and_b64 s[40:41], exec, s[36:37]
	s_or_b64 s[30:31], s[40:41], s[30:31]
	s_andn2_b64 s[40:41], s[34:35], exec
	s_and_b64 s[34:35], s[38:39], exec
	s_or_b64 s[34:35], s[40:41], s[34:35]
	s_andn2_b64 exec, exec, s[30:31]
	s_cbranch_execz .LBB8_135
.LBB8_103:                              ;   Parent Loop BB8_77 Depth=1
                                        ; =>  This Inner Loop Header: Depth=2
	s_sleep 1
	s_waitcnt vmcnt(0) lgkmcnt(0)
	flat_load_dwordx2 v[32:33], v[20:21] sc0 sc1
	s_or_b64 s[38:39], s[38:39], exec
	s_or_b64 s[36:37], s[36:37], exec
                                        ; implicit-def: $vgpr2
	s_and_saveexec_b64 s[48:49], vcc
	s_cbranch_execz .LBB8_102
; %bb.104:                              ;   in Loop: Header=BB8_103 Depth=2
	s_cmpk_lt_i32 s66, 0x270f
	s_cselect_b64 s[54:55], -1, 0
	s_cmpk_gt_i32 s66, 0x270e
	s_mov_b64 s[50:51], -1
	s_cbranch_scc0 .LBB8_106
; %bb.105:                              ;   in Loop: Header=BB8_103 Depth=2
	s_trap 2
	ds_read_b64 v[12:13], v0
	s_andn2_b64 s[54:55], s[54:55], exec
	s_mov_b32 s66, 0
	s_mov_b64 s[52:53], 0
	s_waitcnt vmcnt(0) lgkmcnt(0)
	flat_load_dword v2, v[12:13] sc0 sc1
	s_waitcnt vmcnt(0) lgkmcnt(0)
	buffer_inv sc0 sc1
	v_cmp_eq_u32_e64 s[40:41], 0, v2
	s_and_b64 s[40:41], s[40:41], exec
	s_or_b64 s[54:55], s[54:55], s[40:41]
	s_and_saveexec_b64 s[64:65], s[54:55]
	s_cbranch_execz .LBB8_101
	s_branch .LBB8_100
.LBB8_106:                              ;   in Loop: Header=BB8_103 Depth=2
	s_add_i32 s66, s66, 1
	s_mov_b64 s[52:53], -1
                                        ; implicit-def: $vgpr2
	s_and_saveexec_b64 s[64:65], s[54:55]
	s_cbranch_execz .LBB8_101
	s_branch .LBB8_100
.LBB8_107:                              ;   in Loop: Header=BB8_77 Depth=1
	s_or_b64 exec, exec, s[94:95]
	s_xor_b64 s[40:41], s[30:31], -1
	s_and_saveexec_b64 s[94:95], s[40:41]
	s_xor_b64 s[40:41], exec, s[94:95]
	s_cbranch_execz .LBB8_109
; %bb.108:                              ;   in Loop: Header=BB8_77 Depth=1
	v_or_b32_e32 v114, 64, v114
	s_waitcnt lgkmcnt(0)
	ds_write_b32 v0, v9
	s_trap 2
.LBB8_109:                              ;   in Loop: Header=BB8_77 Depth=1
	s_or_b64 exec, exec, s[40:41]
.LBB8_110:                              ;   in Loop: Header=BB8_77 Depth=1
	s_or_b64 exec, exec, s[44:45]
	v_and_b32_e32 v9, 0x108, v114
	v_cmp_ne_u32_e32 vcc, s69, v9
	;;#ASMSTART
	s_wakeup
	;;#ASMEND
                                        ; implicit-def: $vgpr12_vgpr13
	s_and_saveexec_b64 s[40:41], vcc
	s_xor_b64 s[40:41], exec, s[40:41]
; %bb.111:                              ;   in Loop: Header=BB8_77 Depth=1
	v_and_b32_e32 v12, 7, v8
	v_mov_b32_e32 v13, v3
; %bb.112:                              ;   in Loop: Header=BB8_77 Depth=1
	s_andn2_saveexec_b64 s[40:41], s[40:41]
	s_cbranch_execz .LBB8_114
; %bb.113:                              ;   in Loop: Header=BB8_77 Depth=1
	v_and_b32_e32 v12, 7, v8
	v_mov_b32_e32 v13, v3
	v_mad_u64_u32 v[8:9], s[44:45], v12, 24, v[6:7]
	v_ashrrev_i32_e32 v85, 31, v84
	flat_store_dwordx2 v[8:9], v[84:85] offset:8
.LBB8_114:                              ;   in Loop: Header=BB8_77 Depth=1
	s_or_b64 exec, exec, s[40:41]
	v_and_b32_e32 v8, 0x100, v114
	v_cmp_ne_u32_e32 vcc, 0, v8
	s_mov_b64 s[40:41], -1
                                        ; implicit-def: $vgpr8_vgpr9
	s_and_saveexec_b64 s[44:45], vcc
	s_cbranch_execz .LBB8_118
; %bb.115:                              ;   in Loop: Header=BB8_77 Depth=1
	v_mad_u64_u32 v[86:87], s[40:41], v12, 24, v[6:7]
	v_mov_b32_e32 v8, v87
	v_mad_u64_u32 v[8:9], s[40:41], v13, 24, v[8:9]
	v_mov_b32_e32 v87, v8
	flat_load_dword v8, v[86:87]
	s_waitcnt vmcnt(0) lgkmcnt(0)
	v_cmp_ne_u32_e32 vcc, 1, v8
	v_cmp_eq_u32_e64 s[40:41], 1, v8
                                        ; implicit-def: $vgpr8_vgpr9
	s_and_saveexec_b64 s[94:95], s[40:41]
	s_cbranch_execz .LBB8_117
; %bb.116:                              ;   in Loop: Header=BB8_77 Depth=1
	flat_load_dword v8, v[86:87] offset:4 sc0 sc1
	s_waitcnt vmcnt(0) lgkmcnt(0)
	v_ashrrev_i32_e32 v9, 31, v8
.LBB8_117:                              ;   in Loop: Header=BB8_77 Depth=1
	s_or_b64 exec, exec, s[94:95]
	s_orn2_b64 s[40:41], vcc, exec
.LBB8_118:                              ;   in Loop: Header=BB8_77 Depth=1
	s_or_b64 exec, exec, s[44:45]
	s_and_saveexec_b64 s[44:45], s[40:41]
; %bb.119:                              ;   in Loop: Header=BB8_77 Depth=1
	v_mul_lo_u32 v13, v13, v22
	v_mul_lo_u32 v85, v12, v1
	v_mad_u64_u32 v[8:9], s[40:41], v12, v22, 0
	v_add3_u32 v9, v9, v85, v13
; %bb.120:                              ;   in Loop: Header=BB8_77 Depth=1
	s_or_b64 exec, exec, s[44:45]
	v_cmp_eq_u32_e32 vcc, 0, v2
	v_lshl_add_u64 v[8:9], v[24:25], 0, v[8:9]
	s_nop 0
	v_cndmask_b32_e32 v2, v117, v118, vcc
	v_add_u32_e32 v2, v0, v2
	ds_write_b64 v2, v[8:9] offset:584
	v_and_b32_e32 v2, 0x2000, v114
	v_cmp_ne_u32_e32 vcc, 0, v2
	s_and_saveexec_b64 s[40:41], vcc
	s_cbranch_execz .LBB8_122
; %bb.121:                              ;   in Loop: Header=BB8_77 Depth=1
	ds_read_b64 v[8:9], v0 offset:872
	s_waitcnt lgkmcnt(0)
	v_lshl_add_u64 v[8:9], v[8:9], 0, 1
	ds_write_b64 v0, v[8:9] offset:872
.LBB8_122:                              ;   in Loop: Header=BB8_77 Depth=1
	s_or_b64 exec, exec, s[40:41]
	v_mov_b64_e32 v[8:9], v[10:11]
.LBB8_123:                              ;   in Loop: Header=BB8_77 Depth=1
	s_or_b64 exec, exec, s[42:43]
	s_and_saveexec_b64 s[40:41], s[10:11]
	s_cbranch_execz .LBB8_166
; %bb.124:                              ;   in Loop: Header=BB8_77 Depth=1
	s_and_saveexec_b64 s[42:43], s[60:61]
	s_xor_b64 s[42:43], exec, s[42:43]
	s_cbranch_execz .LBB8_163
; %bb.125:                              ;   in Loop: Header=BB8_77 Depth=1
	s_and_saveexec_b64 s[44:45], s[16:17]
	s_cbranch_execz .LBB8_162
; %bb.126:                              ;   in Loop: Header=BB8_77 Depth=1
	s_mov_b64 s[30:31], exec
	v_mbcnt_lo_u32_b32 v2, s30, 0
	v_mbcnt_hi_u32_b32 v2, s31, v2
	v_cmp_eq_u32_e32 vcc, 0, v2
	s_waitcnt lgkmcnt(0)
	s_and_saveexec_b64 s[94:95], vcc
	s_cbranch_execz .LBB8_128
; %bb.127:                              ;   in Loop: Header=BB8_77 Depth=1
	s_bcnt1_i32_b64 vcc_lo, s[30:31]
	v_mov_b32_e32 v2, vcc_lo
	ds_add_u64 v0, v[2:3]
	s_trap 2
.LBB8_128:                              ;   in Loop: Header=BB8_77 Depth=1
	s_or_b64 exec, exec, s[94:95]
	s_trap 2
	ds_read_b64 v[10:11], v0
	s_waitcnt lgkmcnt(0)
	v_lshl_add_u64 v[26:27], v[26:27], 0, v[34:35]
	v_cmp_lt_u64_e32 vcc, v[10:11], v[26:27]
	s_and_saveexec_b64 s[94:95], vcc
	s_cbranch_execz .LBB8_161
; %bb.129:                              ;   in Loop: Header=BB8_77 Depth=1
	s_mov_b32 s50, 0
	s_mov_b64 s[30:31], 0
                                        ; implicit-def: $sgpr34_sgpr35
                                        ; implicit-def: $sgpr36_sgpr37
	s_branch .LBB8_131
.LBB8_130:                              ;   in Loop: Header=BB8_131 Depth=2
	s_or_b64 exec, exec, s[48:49]
	s_and_b64 vcc, exec, vcc
	s_or_b64 s[30:31], vcc, s[30:31]
	s_andn2_b64 vcc, s[34:35], exec
	s_and_b64 s[34:35], s[36:37], exec
	s_or_b64 s[34:35], vcc, s[34:35]
	s_andn2_b64 exec, exec, s[30:31]
	s_cbranch_execz .LBB8_159
.LBB8_131:                              ;   Parent Loop BB8_77 Depth=1
                                        ; =>  This Inner Loop Header: Depth=2
	s_add_i32 s50, s50, 1
	s_cmpk_lg_i32 s50, 0x2710
	s_cselect_b64 s[38:39], -1, 0
	s_and_b64 vcc, exec, s[38:39]
	s_cbranch_vccz .LBB8_133
; %bb.132:                              ;   in Loop: Header=BB8_131 Depth=2
	s_mov_b64 vcc, -1
	s_or_b64 s[36:37], s[36:37], exec
	s_and_saveexec_b64 s[48:49], s[38:39]
	s_cbranch_execz .LBB8_130
	s_branch .LBB8_134
.LBB8_133:                              ;   in Loop: Header=BB8_131 Depth=2
	s_trap 2
	ds_read_b64 v[10:11], v0
	s_andn2_b64 s[38:39], s[38:39], exec
	s_mov_b32 s50, 0
	s_waitcnt vmcnt(0) lgkmcnt(0)
	flat_load_dword v2, v[10:11] sc0 sc1
	s_waitcnt vmcnt(0) lgkmcnt(0)
	buffer_inv sc0 sc1
	v_cmp_eq_u32_e32 vcc, 0, v2
	s_and_b64 vcc, vcc, exec
	s_or_b64 s[38:39], s[38:39], vcc
	s_mov_b64 vcc, -1
	s_or_b64 s[36:37], s[36:37], exec
	s_and_saveexec_b64 s[48:49], s[38:39]
	s_cbranch_execz .LBB8_130
.LBB8_134:                              ;   in Loop: Header=BB8_131 Depth=2
	s_sleep 1
	s_trap 2
	ds_read_b64 v[10:11], v0
	s_waitcnt lgkmcnt(0)
	s_andn2_b64 s[36:37], s[36:37], exec
	v_cmp_ge_u64_e32 vcc, v[10:11], v[26:27]
	s_orn2_b64 vcc, vcc, exec
	s_branch .LBB8_130
.LBB8_135:                              ;   in Loop: Header=BB8_77 Depth=1
	s_or_b64 exec, exec, s[30:31]
	s_xor_b64 s[40:41], s[34:35], -1
	s_and_saveexec_b64 vcc, s[40:41]
	s_xor_b64 s[40:41], exec, vcc
	s_cbranch_execz .LBB8_137
; %bb.136:                              ;   in Loop: Header=BB8_77 Depth=1
	v_or_b32_e32 v114, 64, v114
	s_waitcnt lgkmcnt(0)
	ds_write_b32 v0, v2
	s_trap 2
.LBB8_137:                              ;   in Loop: Header=BB8_77 Depth=1
	s_or_b64 exec, exec, s[40:41]
.LBB8_138:                              ;   in Loop: Header=BB8_77 Depth=1
	s_or_b64 exec, exec, s[44:45]
	v_and_b32_e32 v2, 0x100, v114
	v_cmp_ne_u32_e32 vcc, 0, v2
	v_and_b32_e32 v2, 7, v8
	s_mov_b64 s[40:41], -1
	;;#ASMSTART
	s_wakeup
	;;#ASMEND
                                        ; implicit-def: $vgpr8_vgpr9
	s_and_saveexec_b64 s[44:45], vcc
	s_cbranch_execz .LBB8_142
; %bb.139:                              ;   in Loop: Header=BB8_77 Depth=1
	v_mad_u64_u32 v[12:13], s[40:41], v2, 24, v[6:7]
	flat_load_dword v8, v[12:13]
	v_ashrrev_i32_e32 v85, 31, v84
	flat_store_dwordx2 v[12:13], v[84:85] offset:8
	s_waitcnt vmcnt(0) lgkmcnt(0)
	v_cmp_ne_u32_e32 vcc, 1, v8
	v_cmp_eq_u32_e64 s[40:41], 1, v8
                                        ; implicit-def: $vgpr8_vgpr9
	s_and_saveexec_b64 s[30:31], s[40:41]
	s_cbranch_execz .LBB8_141
; %bb.140:                              ;   in Loop: Header=BB8_77 Depth=1
	flat_load_dword v8, v[12:13] offset:4 sc0 sc1
	s_waitcnt vmcnt(0) lgkmcnt(0)
	v_ashrrev_i32_e32 v9, 31, v8
.LBB8_141:                              ;   in Loop: Header=BB8_77 Depth=1
	s_or_b64 exec, exec, s[30:31]
	s_orn2_b64 s[40:41], vcc, exec
.LBB8_142:                              ;   in Loop: Header=BB8_77 Depth=1
	s_or_b64 exec, exec, s[44:45]
	s_and_saveexec_b64 s[44:45], s[40:41]
; %bb.143:                              ;   in Loop: Header=BB8_77 Depth=1
	v_mad_i64_i32 v[8:9], s[40:41], v2, v22, 0
; %bb.144:                              ;   in Loop: Header=BB8_77 Depth=1
	s_or_b64 exec, exec, s[44:45]
	v_and_b32_e32 v2, 0x2000, v114
	v_lshl_add_u64 v[8:9], v[24:25], 0, v[8:9]
	v_cmp_ne_u32_e32 vcc, 0, v2
	ds_write_b64 v0, v[8:9] offset:792
	s_and_saveexec_b64 s[40:41], vcc
	s_cbranch_execz .LBB8_146
; %bb.145:                              ;   in Loop: Header=BB8_77 Depth=1
	ds_read_b64 v[8:9], v0 offset:872
	s_waitcnt lgkmcnt(0)
	v_lshl_add_u64 v[8:9], v[8:9], 0, 1
	ds_write_b64 v0, v[8:9] offset:872
.LBB8_146:                              ;   in Loop: Header=BB8_77 Depth=1
	s_or_b64 exec, exec, s[40:41]
	v_mov_b64_e32 v[8:9], v[10:11]
.LBB8_147:                              ;   in Loop: Header=BB8_77 Depth=1
	s_or_b64 exec, exec, s[42:43]
	s_and_saveexec_b64 s[40:41], s[10:11]
	s_cbranch_execz .LBB8_185
; %bb.148:                              ;   in Loop: Header=BB8_77 Depth=1
	s_and_saveexec_b64 s[42:43], s[60:61]
	s_xor_b64 s[42:43], exec, s[42:43]
	s_cbranch_execz .LBB8_182
; %bb.149:                              ;   in Loop: Header=BB8_77 Depth=1
	s_and_saveexec_b64 s[44:45], s[16:17]
	s_cbranch_execz .LBB8_181
; %bb.150:                              ;   in Loop: Header=BB8_77 Depth=1
	s_mov_b64 s[34:35], exec
	v_mbcnt_lo_u32_b32 v2, s34, 0
	v_mbcnt_hi_u32_b32 v2, s35, v2
	v_cmp_eq_u32_e32 vcc, 0, v2
	s_waitcnt lgkmcnt(0)
	s_and_saveexec_b64 s[30:31], vcc
	s_cbranch_execz .LBB8_152
; %bb.151:                              ;   in Loop: Header=BB8_77 Depth=1
	s_bcnt1_i32_b64 vcc_lo, s[34:35]
	v_mov_b32_e32 v2, vcc_lo
	ds_add_u64 v0, v[2:3]
	s_trap 2
.LBB8_152:                              ;   in Loop: Header=BB8_77 Depth=1
	s_or_b64 exec, exec, s[30:31]
	s_trap 2
	ds_read_b64 v[10:11], v0
	s_waitcnt lgkmcnt(0)
	v_lshl_add_u64 v[26:27], v[26:27], 0, v[34:35]
	v_cmp_lt_u64_e32 vcc, v[10:11], v[26:27]
	s_and_saveexec_b64 s[30:31], vcc
	s_cbranch_execz .LBB8_180
; %bb.153:                              ;   in Loop: Header=BB8_77 Depth=1
	s_mov_b32 s52, 0
	s_mov_b64 s[34:35], 0
                                        ; implicit-def: $sgpr36_sgpr37
                                        ; implicit-def: $sgpr38_sgpr39
	s_branch .LBB8_155
.LBB8_154:                              ;   in Loop: Header=BB8_155 Depth=2
	s_or_b64 exec, exec, s[50:51]
	s_and_b64 vcc, exec, vcc
	s_or_b64 s[34:35], vcc, s[34:35]
	s_andn2_b64 vcc, s[36:37], exec
	s_and_b64 s[36:37], s[38:39], exec
	s_or_b64 s[36:37], vcc, s[36:37]
	s_andn2_b64 exec, exec, s[34:35]
	s_cbranch_execz .LBB8_178
.LBB8_155:                              ;   Parent Loop BB8_77 Depth=1
                                        ; =>  This Inner Loop Header: Depth=2
	s_add_i32 s52, s52, 1
	s_cmpk_lg_i32 s52, 0x2710
	s_cselect_b64 s[48:49], -1, 0
	s_and_b64 vcc, exec, s[48:49]
	s_cbranch_vccz .LBB8_157
; %bb.156:                              ;   in Loop: Header=BB8_155 Depth=2
	s_mov_b64 vcc, -1
	s_or_b64 s[38:39], s[38:39], exec
	s_and_saveexec_b64 s[50:51], s[48:49]
	s_cbranch_execz .LBB8_154
	s_branch .LBB8_158
.LBB8_157:                              ;   in Loop: Header=BB8_155 Depth=2
	s_trap 2
	ds_read_b64 v[10:11], v0
	s_andn2_b64 s[48:49], s[48:49], exec
	s_mov_b32 s52, 0
	s_waitcnt vmcnt(0) lgkmcnt(0)
	flat_load_dword v2, v[10:11] sc0 sc1
	s_waitcnt vmcnt(0) lgkmcnt(0)
	buffer_inv sc0 sc1
	v_cmp_eq_u32_e32 vcc, 0, v2
	s_and_b64 vcc, vcc, exec
	s_or_b64 s[48:49], s[48:49], vcc
	s_mov_b64 vcc, -1
	s_or_b64 s[38:39], s[38:39], exec
	s_and_saveexec_b64 s[50:51], s[48:49]
	s_cbranch_execz .LBB8_154
.LBB8_158:                              ;   in Loop: Header=BB8_155 Depth=2
	s_sleep 1
	s_trap 2
	ds_read_b64 v[10:11], v0
	s_waitcnt lgkmcnt(0)
	s_andn2_b64 s[38:39], s[38:39], exec
	v_cmp_ge_u64_e32 vcc, v[10:11], v[26:27]
	s_orn2_b64 vcc, vcc, exec
	s_branch .LBB8_154
.LBB8_159:                              ;   in Loop: Header=BB8_77 Depth=1
	s_or_b64 exec, exec, s[30:31]
	s_and_saveexec_b64 vcc, s[34:35]
	s_xor_b64 vcc, exec, vcc
	s_cbranch_execz .LBB8_161
; %bb.160:                              ;   in Loop: Header=BB8_77 Depth=1
	ds_write_b32 v0, v116
	s_trap 2
.LBB8_161:                              ;   in Loop: Header=BB8_77 Depth=1
	s_or_b64 exec, exec, s[94:95]
	;;#ASMSTART
	s_wakeup
	;;#ASMEND
.LBB8_162:                              ;   in Loop: Header=BB8_77 Depth=1
	s_or_b64 exec, exec, s[44:45]
.LBB8_163:                              ;   in Loop: Header=BB8_77 Depth=1
	s_andn2_saveexec_b64 s[42:43], s[42:43]
	s_cbranch_execz .LBB8_165
; %bb.164:                              ;   in Loop: Header=BB8_77 Depth=1
	s_waitcnt lgkmcnt(0)
	s_barrier
.LBB8_165:                              ;   in Loop: Header=BB8_77 Depth=1
	s_or_b64 exec, exec, s[42:43]
.LBB8_166:                              ;   in Loop: Header=BB8_77 Depth=1
	s_or_b64 exec, exec, s[40:41]
	s_trap 2
	ds_read_b32 v10, v0
	v_and_b32_e32 v2, 0x4000, v114
	v_cmp_ne_u32_e32 vcc, 0, v2
	s_xor_b64 s[40:41], s[6:7], -1
	s_and_b64 s[42:43], s[40:41], vcc
	s_and_saveexec_b64 s[40:41], s[42:43]
	s_cbranch_execz .LBB8_204
; %bb.167:                              ;   in Loop: Header=BB8_77 Depth=1
	s_and_saveexec_b64 s[42:43], s[60:61]
	s_xor_b64 s[42:43], exec, s[42:43]
	s_cbranch_execz .LBB8_201
; %bb.168:                              ;   in Loop: Header=BB8_77 Depth=1
	s_and_saveexec_b64 s[44:45], s[16:17]
	s_cbranch_execz .LBB8_200
; %bb.169:                              ;   in Loop: Header=BB8_77 Depth=1
	s_mov_b64 s[30:31], exec
	v_mbcnt_lo_u32_b32 v2, s30, 0
	v_mbcnt_hi_u32_b32 v2, s31, v2
	v_cmp_eq_u32_e32 vcc, 0, v2
	s_waitcnt lgkmcnt(0)
	s_and_saveexec_b64 s[94:95], vcc
	s_cbranch_execz .LBB8_171
; %bb.170:                              ;   in Loop: Header=BB8_77 Depth=1
	s_bcnt1_i32_b64 vcc_lo, s[30:31]
	v_mov_b32_e32 v2, vcc_lo
	ds_add_u64 v0, v[2:3]
	s_trap 2
.LBB8_171:                              ;   in Loop: Header=BB8_77 Depth=1
	s_or_b64 exec, exec, s[94:95]
	s_trap 2
	ds_read_b64 v[12:13], v0
	s_waitcnt lgkmcnt(0)
	v_lshl_add_u64 v[26:27], v[26:27], 0, v[34:35]
	v_cmp_lt_u64_e32 vcc, v[12:13], v[26:27]
	s_and_saveexec_b64 s[94:95], vcc
	s_cbranch_execz .LBB8_199
; %bb.172:                              ;   in Loop: Header=BB8_77 Depth=1
	s_mov_b32 s50, 0
	s_mov_b64 s[30:31], 0
                                        ; implicit-def: $sgpr34_sgpr35
                                        ; implicit-def: $sgpr36_sgpr37
	s_branch .LBB8_174
.LBB8_173:                              ;   in Loop: Header=BB8_174 Depth=2
	s_or_b64 exec, exec, s[48:49]
	s_and_b64 vcc, exec, vcc
	s_or_b64 s[30:31], vcc, s[30:31]
	s_andn2_b64 vcc, s[34:35], exec
	s_and_b64 s[34:35], s[36:37], exec
	s_or_b64 s[34:35], vcc, s[34:35]
	s_andn2_b64 exec, exec, s[30:31]
	s_cbranch_execz .LBB8_197
.LBB8_174:                              ;   Parent Loop BB8_77 Depth=1
                                        ; =>  This Inner Loop Header: Depth=2
	s_add_i32 s50, s50, 1
	s_cmpk_lg_i32 s50, 0x2710
	s_cselect_b64 s[38:39], -1, 0
	s_and_b64 vcc, exec, s[38:39]
	s_cbranch_vccz .LBB8_176
; %bb.175:                              ;   in Loop: Header=BB8_174 Depth=2
	s_mov_b64 vcc, -1
	s_or_b64 s[36:37], s[36:37], exec
	s_and_saveexec_b64 s[48:49], s[38:39]
	s_cbranch_execz .LBB8_173
	s_branch .LBB8_177
.LBB8_176:                              ;   in Loop: Header=BB8_174 Depth=2
	s_trap 2
	ds_read_b64 v[12:13], v0
	s_andn2_b64 s[38:39], s[38:39], exec
	s_mov_b32 s50, 0
	s_waitcnt vmcnt(0) lgkmcnt(0)
	flat_load_dword v2, v[12:13] sc0 sc1
	s_waitcnt vmcnt(0) lgkmcnt(0)
	buffer_inv sc0 sc1
	v_cmp_eq_u32_e32 vcc, 0, v2
	s_and_b64 vcc, vcc, exec
	s_or_b64 s[38:39], s[38:39], vcc
	s_mov_b64 vcc, -1
	s_or_b64 s[36:37], s[36:37], exec
	s_and_saveexec_b64 s[48:49], s[38:39]
	s_cbranch_execz .LBB8_173
.LBB8_177:                              ;   in Loop: Header=BB8_174 Depth=2
	s_sleep 1
	s_trap 2
	ds_read_b64 v[12:13], v0
	s_waitcnt lgkmcnt(0)
	s_andn2_b64 s[36:37], s[36:37], exec
	v_cmp_ge_u64_e32 vcc, v[12:13], v[26:27]
	s_orn2_b64 vcc, vcc, exec
	s_branch .LBB8_173
.LBB8_178:                              ;   in Loop: Header=BB8_77 Depth=1
	s_or_b64 exec, exec, s[34:35]
	s_and_saveexec_b64 vcc, s[36:37]
	s_xor_b64 vcc, exec, vcc
	s_cbranch_execz .LBB8_180
; %bb.179:                              ;   in Loop: Header=BB8_77 Depth=1
	ds_write_b32 v0, v116
	s_trap 2
.LBB8_180:                              ;   in Loop: Header=BB8_77 Depth=1
	s_or_b64 exec, exec, s[30:31]
	;;#ASMSTART
	s_wakeup
	;;#ASMEND
.LBB8_181:                              ;   in Loop: Header=BB8_77 Depth=1
	s_or_b64 exec, exec, s[44:45]
.LBB8_182:                              ;   in Loop: Header=BB8_77 Depth=1
	s_andn2_saveexec_b64 s[42:43], s[42:43]
	s_cbranch_execz .LBB8_184
; %bb.183:                              ;   in Loop: Header=BB8_77 Depth=1
	s_waitcnt lgkmcnt(0)
	s_barrier
.LBB8_184:                              ;   in Loop: Header=BB8_77 Depth=1
	s_or_b64 exec, exec, s[42:43]
.LBB8_185:                              ;   in Loop: Header=BB8_77 Depth=1
	s_or_b64 exec, exec, s[40:41]
	s_trap 2
	ds_read_b32 v10, v0
	v_and_b32_e32 v2, 0x4000, v114
	v_cmp_ne_u32_e32 vcc, 0, v2
	s_xor_b64 s[40:41], s[6:7], -1
	s_and_b64 s[42:43], s[40:41], vcc
	s_and_saveexec_b64 s[40:41], s[42:43]
	s_cbranch_execz .LBB8_292
; %bb.186:                              ;   in Loop: Header=BB8_77 Depth=1
	s_and_saveexec_b64 s[42:43], s[60:61]
	s_xor_b64 s[42:43], exec, s[42:43]
	s_cbranch_execz .LBB8_289
; %bb.187:                              ;   in Loop: Header=BB8_77 Depth=1
	s_and_saveexec_b64 s[44:45], s[16:17]
	s_cbranch_execz .LBB8_288
; %bb.188:                              ;   in Loop: Header=BB8_77 Depth=1
	s_mov_b64 s[34:35], exec
	v_mbcnt_lo_u32_b32 v2, s34, 0
	v_mbcnt_hi_u32_b32 v2, s35, v2
	v_cmp_eq_u32_e32 vcc, 0, v2
	s_waitcnt lgkmcnt(0)
	s_and_saveexec_b64 s[30:31], vcc
	s_cbranch_execz .LBB8_190
; %bb.189:                              ;   in Loop: Header=BB8_77 Depth=1
	s_bcnt1_i32_b64 vcc_lo, s[34:35]
	v_mov_b32_e32 v2, vcc_lo
	ds_add_u64 v0, v[2:3]
	s_trap 2
.LBB8_190:                              ;   in Loop: Header=BB8_77 Depth=1
	s_or_b64 exec, exec, s[30:31]
	s_trap 2
	ds_read_b64 v[12:13], v0
	s_waitcnt lgkmcnt(0)
	v_lshl_add_u64 v[26:27], v[26:27], 0, v[34:35]
	v_cmp_lt_u64_e32 vcc, v[12:13], v[26:27]
	s_and_saveexec_b64 s[30:31], vcc
	s_cbranch_execz .LBB8_287
; %bb.191:                              ;   in Loop: Header=BB8_77 Depth=1
	s_mov_b32 s52, 0
	s_mov_b64 s[34:35], 0
                                        ; implicit-def: $sgpr36_sgpr37
                                        ; implicit-def: $sgpr38_sgpr39
	s_branch .LBB8_193
.LBB8_192:                              ;   in Loop: Header=BB8_193 Depth=2
	s_or_b64 exec, exec, s[50:51]
	s_and_b64 vcc, exec, vcc
	s_or_b64 s[34:35], vcc, s[34:35]
	s_andn2_b64 vcc, s[36:37], exec
	s_and_b64 s[36:37], s[38:39], exec
	s_or_b64 s[36:37], vcc, s[36:37]
	s_andn2_b64 exec, exec, s[34:35]
	s_cbranch_execz .LBB8_285
.LBB8_193:                              ;   Parent Loop BB8_77 Depth=1
                                        ; =>  This Inner Loop Header: Depth=2
	s_add_i32 s52, s52, 1
	s_cmpk_lg_i32 s52, 0x2710
	s_cselect_b64 s[48:49], -1, 0
	s_and_b64 vcc, exec, s[48:49]
	s_cbranch_vccz .LBB8_195
; %bb.194:                              ;   in Loop: Header=BB8_193 Depth=2
	s_mov_b64 vcc, -1
	s_or_b64 s[38:39], s[38:39], exec
	s_and_saveexec_b64 s[50:51], s[48:49]
	s_cbranch_execz .LBB8_192
	s_branch .LBB8_196
.LBB8_195:                              ;   in Loop: Header=BB8_193 Depth=2
	s_trap 2
	ds_read_b64 v[12:13], v0
	s_andn2_b64 s[48:49], s[48:49], exec
	s_mov_b32 s52, 0
	s_waitcnt vmcnt(0) lgkmcnt(0)
	flat_load_dword v2, v[12:13] sc0 sc1
	s_waitcnt vmcnt(0) lgkmcnt(0)
	buffer_inv sc0 sc1
	v_cmp_eq_u32_e32 vcc, 0, v2
	s_and_b64 vcc, vcc, exec
	s_or_b64 s[48:49], s[48:49], vcc
	s_mov_b64 vcc, -1
	s_or_b64 s[38:39], s[38:39], exec
	s_and_saveexec_b64 s[50:51], s[48:49]
	s_cbranch_execz .LBB8_192
.LBB8_196:                              ;   in Loop: Header=BB8_193 Depth=2
	s_sleep 1
	s_trap 2
	ds_read_b64 v[12:13], v0
	s_waitcnt lgkmcnt(0)
	s_andn2_b64 s[38:39], s[38:39], exec
	v_cmp_ge_u64_e32 vcc, v[12:13], v[26:27]
	s_orn2_b64 vcc, vcc, exec
	s_branch .LBB8_192
.LBB8_197:                              ;   in Loop: Header=BB8_77 Depth=1
	s_or_b64 exec, exec, s[30:31]
	s_and_saveexec_b64 vcc, s[34:35]
	s_xor_b64 vcc, exec, vcc
	s_cbranch_execz .LBB8_199
; %bb.198:                              ;   in Loop: Header=BB8_77 Depth=1
	ds_write_b32 v0, v116
	s_trap 2
.LBB8_199:                              ;   in Loop: Header=BB8_77 Depth=1
	s_or_b64 exec, exec, s[94:95]
	;;#ASMSTART
	s_wakeup
	;;#ASMEND
.LBB8_200:                              ;   in Loop: Header=BB8_77 Depth=1
	s_or_b64 exec, exec, s[44:45]
.LBB8_201:                              ;   in Loop: Header=BB8_77 Depth=1
	s_andn2_saveexec_b64 s[42:43], s[42:43]
	s_cbranch_execz .LBB8_203
; %bb.202:                              ;   in Loop: Header=BB8_77 Depth=1
	s_waitcnt lgkmcnt(0)
	s_barrier
.LBB8_203:                              ;   in Loop: Header=BB8_77 Depth=1
	s_or_b64 exec, exec, s[42:43]
.LBB8_204:                              ;   in Loop: Header=BB8_77 Depth=1
	s_or_b64 exec, exec, s[40:41]
	s_trap 2
	ds_read_b64 v[86:87], v0
	s_waitcnt lgkmcnt(0)
	v_cmp_eq_u64_e32 vcc, 0, v[86:87]
	s_cbranch_vccnz .LBB8_271
; %bb.205:                              ;   in Loop: Header=BB8_77 Depth=1
	s_trap 2
	ds_read_b64 v[96:97], v0
	s_waitcnt lgkmcnt(0)
	v_cmp_eq_u64_e32 vcc, 0, v[96:97]
	s_cbranch_vccnz .LBB8_271
; %bb.206:                              ;   in Loop: Header=BB8_77 Depth=1
	s_trap 2
	ds_read_b64 v[98:99], v0
	v_cmp_eq_u32_e64 s[40:41], 0, v10
	s_waitcnt lgkmcnt(0)
	v_cmp_ne_u64_e32 vcc, 0, v[98:99]
	v_cndmask_b32_e64 v2, 0, v84, s[40:41]
	s_cbranch_vccz .LBB8_272
; %bb.207:                              ;   in Loop: Header=BB8_77 Depth=1
	s_mov_b64 s[42:43], -1
	s_and_saveexec_b64 s[40:41], s[18:19]
	s_cbranch_execz .LBB8_209
; %bb.208:                              ;   in Loop: Header=BB8_77 Depth=1
	ds_read_b32 v10, v0 offset:720
	s_waitcnt lgkmcnt(0)
	v_and_b32_e32 v10, 15, v10
	v_cmp_eq_u32_e32 vcc, 0, v10
	s_orn2_b64 s[42:43], vcc, exec
.LBB8_209:                              ;   in Loop: Header=BB8_77 Depth=1
	s_or_b64 exec, exec, s[40:41]
	s_and_saveexec_b64 s[40:41], s[20:21]
	s_cbranch_execz .LBB8_211
; %bb.210:                              ;   in Loop: Header=BB8_77 Depth=1
	ds_read_b32 v10, v0 offset:784
	s_waitcnt lgkmcnt(0)
	v_and_b32_e32 v10, 15, v10
	v_cmp_eq_u32_e32 vcc, 0, v10
	s_and_b64 s[44:45], s[42:43], vcc
	s_andn2_b64 s[42:43], s[42:43], exec
	s_and_b64 s[44:45], s[44:45], exec
	s_or_b64 s[42:43], s[42:43], s[44:45]
.LBB8_211:                              ;   in Loop: Header=BB8_77 Depth=1
	s_or_b64 exec, exec, s[40:41]
	s_xor_b64 s[42:43], s[42:43], -1
	v_cndmask_b32_e64 v10, 0, 1, s[42:43]
	s_mov_b64 s[40:41], -1
	v_mov_b32_e32 v85, 0
	v_cmp_ne_u32_e32 vcc, 0, v10
	v_mov_b32_e32 v100, v2
	v_mov_b32_e32 v101, v0
	;; [unrolled: 1-line block ×3, first 2 shown]
	s_cbranch_vccnz .LBB8_227
; %bb.212:                              ;   in Loop: Header=BB8_77 Depth=1
	v_ashrrev_i32_e32 v10, 31, v2
	v_lshrrev_b32_e32 v10, 21, v10
	v_add_u32_e32 v10, v2, v10
	v_ashrrev_i32_e32 v85, 11, v10
	v_sub_u32_e32 v102, v85, v119
	v_cmp_lt_i32_e32 vcc, 0, v102
	s_and_saveexec_b64 s[40:41], vcc
	s_cbranch_execz .LBB8_216
; %bb.213:                              ;   in Loop: Header=BB8_77 Depth=1
	v_lshl_add_u64 v[10:11], v[86:87], 0, v[80:81]
	v_lshl_add_u64 v[12:13], v[96:97], 0, v[80:81]
	;; [unrolled: 1-line block ×3, first 2 shown]
	s_mov_b64 s[42:43], 0
.LBB8_214:                              ;   Parent Loop BB8_77 Depth=1
                                        ; =>  This Inner Loop Header: Depth=2
	global_load_dwordx4 v[42:45], v[10:11], off nt
	global_load_dwordx4 v[58:61], v[10:11], off offset:1024 nt
	v_sub_u32_e32 v102, v102, v34
	v_cmp_gt_i32_e32 vcc, 1, v102
	v_lshl_add_u64 v[10:11], v[10:11], 0, v[48:49]
	s_or_b64 s[42:43], vcc, s[42:43]
	s_waitcnt vmcnt(0)
	global_store_dwordx4 v[12:13], v[42:45], off
	global_store_dwordx4 v[12:13], v[58:61], off offset:1024
	global_store_dwordx4 v[100:101], v[42:45], off
	global_store_dwordx4 v[100:101], v[58:61], off offset:1024
	v_lshl_add_u64 v[12:13], v[12:13], 0, v[48:49]
	v_lshl_add_u64 v[100:101], v[100:101], 0, v[48:49]
	s_andn2_b64 exec, exec, s[42:43]
	s_cbranch_execnz .LBB8_214
; %bb.215:                              ;   in Loop: Header=BB8_77 Depth=1
	s_or_b64 exec, exec, s[42:43]
.LBB8_216:                              ;   in Loop: Header=BB8_77 Depth=1
	s_or_b64 exec, exec, s[40:41]
	v_lshlrev_b32_e32 v42, 11, v85
	v_cmp_ne_u32_e32 vcc, v2, v42
	s_mov_b64 s[40:41], 0
	v_mov_b32_e32 v85, 0
                                        ; implicit-def: $vgpr100
                                        ; implicit-def: $vgpr101
                                        ; implicit-def: $vgpr10
	s_and_saveexec_b64 s[94:95], vcc
	s_cbranch_execz .LBB8_226
; %bb.217:                              ;   in Loop: Header=BB8_77 Depth=1
	v_lshlrev_b32_e32 v10, 6, v102
	v_sub_u32_e32 v10, v40, v10
	v_ashrrev_i32_e32 v12, 31, v10
	v_lshrrev_b32_e32 v12, 26, v12
	v_add_u32_e32 v12, v10, v12
	v_sub_u32_e32 v11, v2, v42
	v_ashrrev_i32_e32 v13, 6, v12
	v_and_b32_e32 v12, 0xffffffc0, v12
	v_sub_u32_e32 v43, v10, v12
	v_ashrrev_i32_e32 v12, 31, v11
	v_lshrrev_b32_e32 v12, 22, v12
	v_add_u32_e32 v12, v11, v12
	v_and_b32_e32 v44, 0xfffffc00, v12
	v_lshlrev_b32_e32 v10, 4, v43
	v_sub_u32_e32 v46, v11, v44
	v_lshl_add_u32 v10, v13, 10, v10
	v_ashrrev_i32_e32 v100, 10, v12
	v_cmp_lt_i32_e64 s[40:41], 15, v46
	v_sub_u32_e32 v85, v11, v10
	s_nop 0
	v_addc_co_u32_e64 v11, vcc, 0, v100, s[40:41]
	v_sub_u32_e32 v45, v11, v13
	v_cmp_lt_i32_e32 vcc, 15, v85
	s_and_saveexec_b64 s[30:31], vcc
	s_cbranch_execz .LBB8_223
; %bb.218:                              ;   in Loop: Header=BB8_77 Depth=1
	v_add_u32_e32 v10, v10, v42
	v_ashrrev_i32_e32 v11, 31, v10
	v_lshl_add_u64 v[100:101], v[10:11], 0, v[86:87]
	v_lshl_add_u64 v[102:103], v[10:11], 0, v[96:97]
	;; [unrolled: 1-line block ×3, first 2 shown]
	s_mov_b64 s[34:35], 0
.LBB8_219:                              ;   Parent Loop BB8_77 Depth=1
                                        ; =>  This Loop Header: Depth=2
                                        ;       Child Loop BB8_220 Depth 3
	global_load_dwordx4 v[10:13], v[100:101], off nt
	s_mov_b64 s[36:37], -1
	s_mov_b64 s[38:39], 0
	s_waitcnt vmcnt(0)
.LBB8_220:                              ;   Parent Loop BB8_77 Depth=1
                                        ;     Parent Loop BB8_219 Depth=2
                                        ; =>    This Inner Loop Header: Depth=3
	s_cmp_eq_u32 s38, 1
	s_cselect_b64 vcc, -1, 0
	v_cndmask_b32_e32 v59, v103, v113, vcc
	s_cmp_eq_u32 s38, 0
	v_cndmask_b32_e32 v58, v102, v112, vcc
	global_store_dwordx4 v[58:59], v[10:13], off
	v_lshl_add_u64 v[58:59], v[58:59], 0, s[62:63]
	s_cselect_b64 s[42:43], -1, 0
	s_and_b64 s[44:45], exec, s[36:37]
	s_mov_b64 s[38:39], 1
	s_mov_b64 s[36:37], 0
	v_cndmask_b32_e32 v113, v113, v59, vcc
	v_cndmask_b32_e32 v112, v112, v58, vcc
	v_cndmask_b32_e64 v103, v103, v59, s[42:43]
	v_cndmask_b32_e64 v102, v102, v58, s[42:43]
	s_mov_b64 vcc, s[44:45]
	s_cbranch_vccnz .LBB8_220
; %bb.221:                              ;   in Loop: Header=BB8_219 Depth=2
	v_sub_u32_e32 v85, v85, v50
	v_cmp_gt_i32_e32 vcc, 16, v85
	v_lshl_add_u64 v[102:103], v[102:103], 0, v[64:65]
	v_lshl_add_u64 v[112:113], v[112:113], 0, v[64:65]
	;; [unrolled: 1-line block ×3, first 2 shown]
	s_or_b64 s[34:35], vcc, s[34:35]
	v_sub_u32_e32 v45, v45, v34
	s_andn2_b64 exec, exec, s[34:35]
	s_cbranch_execnz .LBB8_219
; %bb.222:                              ;   in Loop: Header=BB8_77 Depth=1
	s_or_b64 exec, exec, s[34:35]
.LBB8_223:                              ;   in Loop: Header=BB8_77 Depth=1
	s_or_b64 exec, exec, s[30:31]
	v_and_b32_e32 v11, 15, v2
	v_cndmask_b32_e64 v100, v46, v11, s[40:41]
	v_mov_b32_e32 v85, 0
	v_cmp_ne_u32_e32 vcc, 0, v100
	s_mov_b64 s[42:43], 0
                                        ; implicit-def: $vgpr101
                                        ; implicit-def: $vgpr10
	s_and_saveexec_b64 s[44:45], vcc
	s_cbranch_execz .LBB8_225
; %bb.224:                              ;   in Loop: Header=BB8_77 Depth=1
	v_sub_u32_e32 v10, v46, v11
	v_cndmask_b32_e64 v10, 0, v10, s[40:41]
	v_cmp_lt_i32_e32 vcc, 0, v45
	v_add3_u32 v85, v44, v42, v10
	s_mov_b64 s[42:43], exec
	v_cndmask_b32_e32 v10, 0, v34, vcc
	v_sub_u32_e32 v10, v10, v45
	v_lshl_add_u32 v101, v10, 6, v43
	v_ashrrev_i32_e32 v10, 31, v101
	v_lshrrev_b32_e32 v10, 26, v10
	v_add_u32_e32 v10, v101, v10
	v_ashrrev_i32_e32 v10, 6, v10
.LBB8_225:                              ;   in Loop: Header=BB8_77 Depth=1
	s_or_b64 exec, exec, s[44:45]
	s_and_b64 s[40:41], s[42:43], exec
.LBB8_226:                              ;   in Loop: Header=BB8_77 Depth=1
	s_or_b64 exec, exec, s[94:95]
.LBB8_227:                              ;   in Loop: Header=BB8_77 Depth=1
	s_and_saveexec_b64 s[44:45], s[40:41]
	s_cbranch_execz .LBB8_238
; %bb.228:                              ;   in Loop: Header=BB8_77 Depth=1
	v_ashrrev_i32_e32 v11, 31, v100
	v_lshrrev_b32_e32 v11, 22, v11
	v_add_u32_e32 v11, v100, v11
	v_ashrrev_i32_e32 v112, 10, v11
	v_sub_u32_e32 v102, v112, v10
	v_cmp_lt_i32_e32 vcc, 0, v102
	v_ashrrev_i32_e32 v103, 31, v101
	s_and_saveexec_b64 s[40:41], vcc
	s_cbranch_execz .LBB8_232
; %bb.229:                              ;   in Loop: Header=BB8_77 Depth=1
	v_lshrrev_b32_e32 v11, 26, v103
	v_add_u32_e32 v11, v101, v11
	v_and_b32_e32 v11, 0xffffffc0, v11
	v_sub_u32_e32 v11, v101, v11
	v_lshlrev_b32_e32 v10, 10, v10
	v_add3_u32 v42, v85, v11, v10
	v_ashrrev_i32_e32 v43, 31, v42
	v_lshl_add_u64 v[12:13], v[42:43], 0, v[98:99]
	v_lshl_add_u64 v[98:99], v[86:87], 0, s[74:75]
	;; [unrolled: 1-line block ×4, first 2 shown]
	s_mov_b64 s[42:43], 0
.LBB8_230:                              ;   Parent Loop BB8_77 Depth=1
                                        ; =>  This Inner Loop Header: Depth=2
	v_add_co_u32_e32 v42, vcc, 0xfffffc40, v98
	flat_load_ubyte v113, v[98:99] nt
	s_nop 0
	v_addc_co_u32_e32 v43, vcc, -1, v99, vcc
	v_add_co_u32_e32 v44, vcc, 0xfffffc80, v98
	flat_load_ubyte v46, v[42:43] nt
	s_nop 0
	v_addc_co_u32_e32 v45, vcc, -1, v99, vcc
	;; [unrolled: 4-line block ×15, first 2 shown]
	flat_load_ubyte v42, v[42:43] nt
	v_sub_u32_e32 v102, v102, v34
	v_cmp_gt_i32_e32 vcc, 1, v102
	s_or_b64 s[42:43], vcc, s[42:43]
	v_lshl_add_u64 v[98:99], v[98:99], 0, v[70:71]
	s_waitcnt vmcnt(0) lgkmcnt(0)
	flat_store_byte v[10:11], v113 offset:960 nt
	flat_store_byte v[10:11], v46 nt
	flat_store_byte v[10:11], v47 offset:64 nt
	flat_store_byte v[10:11], v58 offset:128 nt
	;; [unrolled: 1-line block ×14, first 2 shown]
	flat_store_byte v[12:13], v46 nt
	flat_store_byte v[12:13], v47 offset:64 nt
	flat_store_byte v[12:13], v58 offset:128 nt
	;; [unrolled: 1-line block ×15, first 2 shown]
	v_lshl_add_u64 v[10:11], v[10:11], 0, v[50:51]
	v_lshl_add_u64 v[12:13], v[12:13], 0, v[50:51]
	s_andn2_b64 exec, exec, s[42:43]
	s_cbranch_execnz .LBB8_230
; %bb.231:                              ;   in Loop: Header=BB8_77 Depth=1
	s_or_b64 exec, exec, s[42:43]
.LBB8_232:                              ;   in Loop: Header=BB8_77 Depth=1
	s_or_b64 exec, exec, s[40:41]
	v_lshlrev_b32_e32 v10, 10, v112
	v_cmp_ne_u32_e32 vcc, v100, v10
	s_and_b64 exec, exec, vcc
	s_cbranch_execz .LBB8_238
; %bb.233:                              ;   in Loop: Header=BB8_77 Depth=1
	v_lshrrev_b32_e32 v11, 26, v103
	v_add_u32_e32 v11, v101, v11
	v_and_b32_e32 v11, 0xffffffc0, v11
	v_sub_u32_e32 v11, v101, v11
	v_lshlrev_b32_e32 v12, 6, v102
	v_sub_u32_e32 v11, v11, v12
	v_add_u32_e32 v10, v10, v11
	v_sub_u32_e32 v100, v100, v10
	v_cmp_lt_i32_e32 vcc, 0, v100
	s_and_b64 exec, exec, vcc
	s_cbranch_execz .LBB8_238
; %bb.234:                              ;   in Loop: Header=BB8_77 Depth=1
	s_trap 2
	ds_read_b64 v[12:13], v0
	ds_read_b128 v[42:45], v0
	v_add_u32_e32 v98, v10, v85
	v_ashrrev_i32_e32 v99, 31, v98
	s_mov_b64 s[94:95], 0
	s_waitcnt lgkmcnt(0)
	v_lshl_add_u64 v[10:11], v[12:13], 0, v[98:99]
	v_lshl_add_u64 v[12:13], v[42:43], 0, v[98:99]
	;; [unrolled: 1-line block ×3, first 2 shown]
.LBB8_235:                              ;   Parent Loop BB8_77 Depth=1
                                        ; =>  This Loop Header: Depth=2
                                        ;       Child Loop BB8_236 Depth 3
	flat_load_ubyte v85, v[10:11] nt
	s_mov_b64 s[30:31], -1
	s_mov_b64 s[34:35], 0
	s_waitcnt vmcnt(0)
.LBB8_236:                              ;   Parent Loop BB8_77 Depth=1
                                        ;     Parent Loop BB8_235 Depth=2
                                        ; =>    This Inner Loop Header: Depth=3
	s_cmp_eq_u32 s34, 1
	s_cselect_b64 vcc, -1, 0
	v_cndmask_b32_e32 v103, v13, v99, vcc
	s_cmp_eq_u32 s34, 0
	v_cndmask_b32_e32 v102, v12, v98, vcc
	s_waitcnt lgkmcnt(0)
	flat_store_byte v[102:103], v85 nt
	v_lshl_add_u64 v[102:103], v[102:103], 0, 64
	s_cselect_b64 s[40:41], -1, 0
	s_and_b64 s[42:43], exec, s[30:31]
	s_mov_b64 s[34:35], 1
	s_mov_b64 s[30:31], 0
	v_cndmask_b32_e32 v99, v99, v103, vcc
	v_cndmask_b32_e32 v98, v98, v102, vcc
	v_cndmask_b32_e64 v13, v13, v103, s[40:41]
	v_cndmask_b32_e64 v12, v12, v102, s[40:41]
	s_mov_b64 vcc, s[42:43]
	s_cbranch_vccnz .LBB8_236
; %bb.237:                              ;   in Loop: Header=BB8_235 Depth=2
	v_sub_u32_e32 v100, v100, v115
	v_cmp_gt_i32_e32 vcc, 1, v100
	v_lshl_add_u64 v[12:13], v[12:13], 0, v[52:53]
	v_lshl_add_u64 v[98:99], v[98:99], 0, v[52:53]
	s_or_b64 s[94:95], vcc, s[94:95]
	v_lshl_add_u64 v[10:11], v[68:69], 0, v[10:11]
	s_andn2_b64 exec, exec, s[94:95]
	s_cbranch_execnz .LBB8_235
.LBB8_238:                              ;   in Loop: Header=BB8_77 Depth=1
	s_or_b64 exec, exec, s[44:45]
	s_branch .LBB8_273
.LBB8_239:                              ;   in Loop: Header=BB8_77 Depth=1
	s_mov_b64 s[40:41], -1
	s_and_saveexec_b64 s[42:43], s[18:19]
	s_cbranch_execz .LBB8_241
; %bb.240:                              ;   in Loop: Header=BB8_77 Depth=1
	ds_read_b32 v10, v0 offset:720
	s_waitcnt lgkmcnt(0)
	v_and_b32_e32 v10, 15, v10
	v_cmp_eq_u32_e32 vcc, 0, v10
	s_orn2_b64 s[40:41], vcc, exec
.LBB8_241:                              ;   in Loop: Header=BB8_77 Depth=1
	s_or_b64 exec, exec, s[42:43]
	s_and_saveexec_b64 s[42:43], s[22:23]
	s_cbranch_execz .LBB8_243
; %bb.242:                              ;   in Loop: Header=BB8_77 Depth=1
	ds_read_b32 v10, v0 offset:784
	s_waitcnt lgkmcnt(0)
	v_and_b32_e32 v10, 15, v10
	v_cmp_eq_u32_e32 vcc, 0, v10
	s_and_b64 s[44:45], s[40:41], vcc
	s_andn2_b64 s[40:41], s[40:41], exec
	s_and_b64 s[44:45], s[44:45], exec
	s_or_b64 s[40:41], s[40:41], s[44:45]
.LBB8_243:                              ;   in Loop: Header=BB8_77 Depth=1
	s_or_b64 exec, exec, s[42:43]
	s_xor_b64 s[40:41], s[40:41], -1
	v_cndmask_b32_e64 v10, 0, 1, s[40:41]
	s_mov_b64 s[44:45], -1
	v_mov_b32_e32 v12, 0
	v_cmp_ne_u32_e32 vcc, 0, v10
	v_mov_b32_e32 v13, v2
	v_mov_b32_e32 v85, v0
	;; [unrolled: 1-line block ×3, first 2 shown]
	s_cbranch_vccnz .LBB8_257
; %bb.244:                              ;   in Loop: Header=BB8_77 Depth=1
	v_ashrrev_i32_e32 v10, 31, v2
	v_lshrrev_b32_e32 v10, 20, v10
	v_add_u32_e32 v10, v2, v10
	v_ashrrev_i32_e32 v85, 12, v10
	v_sub_u32_e32 v99, v85, v119
	v_cmp_lt_i32_e32 vcc, 0, v99
	s_and_saveexec_b64 s[40:41], vcc
	s_cbranch_execz .LBB8_248
; %bb.245:                              ;   in Loop: Header=BB8_77 Depth=1
	s_mov_b64 s[42:43], 0
	v_mov_b64_e32 v[10:11], v[96:97]
	v_mov_b64_e32 v[12:13], v[86:87]
.LBB8_246:                              ;   Parent Loop BB8_77 Depth=1
                                        ; =>  This Inner Loop Header: Depth=2
	v_lshl_add_u64 v[112:113], v[82:83], 0, v[12:13]
	global_load_dwordx4 v[100:103], v[112:113], off nt
	global_load_dwordx4 v[42:45], v[112:113], off offset:1024 nt
	global_load_dwordx4 v[58:61], v[112:113], off offset:2048 nt
	;; [unrolled: 1-line block ×3, first 2 shown]
	v_sub_u32_e32 v99, v99, v34
	v_cmp_gt_i32_e32 vcc, 1, v99
	v_lshl_add_u64 v[112:113], v[82:83], 0, v[10:11]
	v_lshl_add_u64 v[12:13], v[12:13], 0, v[54:55]
	;; [unrolled: 1-line block ×3, first 2 shown]
	s_or_b64 s[42:43], vcc, s[42:43]
	s_waitcnt vmcnt(0)
	global_store_dwordx4 v[112:113], v[100:103], off
	global_store_dwordx4 v[112:113], v[42:45], off offset:1024
	global_store_dwordx4 v[112:113], v[58:61], off offset:2048
	;; [unrolled: 1-line block ×3, first 2 shown]
	s_andn2_b64 exec, exec, s[42:43]
	s_cbranch_execnz .LBB8_246
; %bb.247:                              ;   in Loop: Header=BB8_77 Depth=1
	s_or_b64 exec, exec, s[42:43]
.LBB8_248:                              ;   in Loop: Header=BB8_77 Depth=1
	s_or_b64 exec, exec, s[40:41]
	v_lshlrev_b32_e32 v98, 12, v85
	v_cmp_ne_u32_e32 vcc, v2, v98
	s_mov_b64 s[44:45], 0
	v_mov_b32_e32 v12, 0
                                        ; implicit-def: $vgpr13
                                        ; implicit-def: $vgpr85
                                        ; implicit-def: $vgpr10
	s_and_saveexec_b64 s[42:43], vcc
	s_cbranch_execz .LBB8_256
; %bb.249:                              ;   in Loop: Header=BB8_77 Depth=1
	v_lshlrev_b32_e32 v10, 6, v99
	v_sub_u32_e32 v10, v40, v10
	v_sub_u32_e32 v11, v2, v98
	v_ashrrev_i32_e32 v12, 31, v10
	v_lshrrev_b32_e32 v12, 26, v12
	v_ashrrev_i32_e32 v85, 31, v11
	v_add_u32_e32 v12, v10, v12
	v_lshrrev_b32_e32 v85, 22, v85
	v_ashrrev_i32_e32 v13, 6, v12
	v_and_b32_e32 v12, 0xffffffc0, v12
	v_add_u32_e32 v85, v11, v85
	v_sub_u32_e32 v99, v10, v12
	v_and_b32_e32 v100, 0xfffffc00, v85
	v_lshlrev_b32_e32 v10, 4, v99
	v_sub_u32_e32 v102, v11, v100
	v_lshl_add_u32 v10, v13, 10, v10
	v_ashrrev_i32_e32 v101, 10, v85
	v_cmp_lt_i32_e32 vcc, 15, v102
	v_sub_u32_e32 v12, v11, v10
	s_nop 0
	v_addc_co_u32_e64 v11, s[40:41], 0, v101, vcc
	v_sub_u32_e32 v101, v11, v13
	v_cmp_lt_i32_e64 s[40:41], 15, v12
	s_and_saveexec_b64 s[44:45], s[40:41]
	s_cbranch_execz .LBB8_253
; %bb.250:                              ;   in Loop: Header=BB8_77 Depth=1
	v_add_u32_e32 v10, v10, v98
	v_ashrrev_i32_e32 v11, 31, v10
	s_mov_b64 s[94:95], 0
.LBB8_251:                              ;   Parent Loop BB8_77 Depth=1
                                        ; =>  This Inner Loop Header: Depth=2
	v_lshl_add_u64 v[112:113], v[86:87], 0, v[10:11]
	global_load_dwordx4 v[42:45], v[112:113], off nt
	v_sub_u32_e32 v12, v12, v50
	v_cmp_gt_i32_e64 s[40:41], 16, v12
	v_lshl_add_u64 v[112:113], v[96:97], 0, v[10:11]
	v_sub_u32_e32 v101, v101, v34
	v_lshl_add_u64 v[10:11], v[10:11], 0, v[70:71]
	s_or_b64 s[94:95], s[40:41], s[94:95]
	s_waitcnt vmcnt(0)
	global_store_dwordx4 v[112:113], v[42:45], off
	s_andn2_b64 exec, exec, s[94:95]
	s_cbranch_execnz .LBB8_251
; %bb.252:                              ;   in Loop: Header=BB8_77 Depth=1
	s_or_b64 exec, exec, s[94:95]
.LBB8_253:                              ;   in Loop: Header=BB8_77 Depth=1
	s_or_b64 exec, exec, s[44:45]
	v_and_b32_e32 v11, 15, v2
	v_cndmask_b32_e32 v13, v102, v11, vcc
	v_mov_b32_e32 v12, 0
	v_cmp_ne_u32_e64 s[40:41], 0, v13
	s_mov_b64 s[44:45], 0
                                        ; implicit-def: $vgpr85
                                        ; implicit-def: $vgpr10
	s_and_saveexec_b64 s[94:95], s[40:41]
	s_cbranch_execz .LBB8_255
; %bb.254:                              ;   in Loop: Header=BB8_77 Depth=1
	v_sub_u32_e32 v10, v102, v11
	v_cndmask_b32_e32 v10, 0, v10, vcc
	v_cmp_lt_i32_e32 vcc, 0, v101
	v_add3_u32 v12, v100, v98, v10
	s_mov_b64 s[44:45], exec
	v_cndmask_b32_e32 v10, 0, v34, vcc
	v_sub_u32_e32 v10, v10, v101
	v_lshl_add_u32 v85, v10, 6, v99
	v_ashrrev_i32_e32 v10, 31, v85
	v_lshrrev_b32_e32 v10, 26, v10
	v_add_u32_e32 v10, v85, v10
	v_ashrrev_i32_e32 v10, 6, v10
.LBB8_255:                              ;   in Loop: Header=BB8_77 Depth=1
	s_or_b64 exec, exec, s[94:95]
	s_and_b64 s[44:45], s[44:45], exec
.LBB8_256:                              ;   in Loop: Header=BB8_77 Depth=1
	s_or_b64 exec, exec, s[42:43]
.LBB8_257:                              ;   in Loop: Header=BB8_77 Depth=1
	s_and_saveexec_b64 s[40:41], s[44:45]
	s_cbranch_execz .LBB8_266
; %bb.258:                              ;   in Loop: Header=BB8_77 Depth=1
	v_ashrrev_i32_e32 v11, 31, v13
	v_lshrrev_b32_e32 v11, 22, v11
	v_add_u32_e32 v11, v13, v11
	v_ashrrev_i32_e32 v99, 10, v11
	v_sub_u32_e32 v98, v99, v10
	v_cmp_lt_i32_e32 vcc, 0, v98
	s_and_saveexec_b64 s[42:43], vcc
	s_cbranch_execz .LBB8_262
; %bb.259:                              ;   in Loop: Header=BB8_77 Depth=1
	v_ashrrev_i32_e32 v11, 31, v85
	v_lshrrev_b32_e32 v11, 26, v11
	v_add_u32_e32 v11, v85, v11
	v_and_b32_e32 v11, 0xffffffc0, v11
	v_sub_u32_e32 v11, v85, v11
	v_lshlrev_b32_e32 v10, 10, v10
	v_add3_u32 v10, v12, v11, v10
	v_ashrrev_i32_e32 v11, 31, v10
	s_mov_b64 s[44:45], 0
.LBB8_260:                              ;   Parent Loop BB8_77 Depth=1
                                        ; =>  This Inner Loop Header: Depth=2
	v_lshl_add_u64 v[100:101], v[10:11], 0, v[86:87]
	flat_load_ubyte v102, v[100:101] nt
	flat_load_ubyte v103, v[100:101] offset:64 nt
	flat_load_ubyte v112, v[100:101] offset:128 nt
	;; [unrolled: 1-line block ×15, first 2 shown]
	v_sub_u32_e32 v98, v98, v34
	v_cmp_gt_i32_e32 vcc, 1, v98
	v_lshl_add_u64 v[100:101], v[10:11], 0, v[96:97]
	v_lshl_add_u64 v[86:87], v[86:87], 0, v[70:71]
	;; [unrolled: 1-line block ×3, first 2 shown]
	s_or_b64 s[44:45], vcc, s[44:45]
	s_waitcnt vmcnt(0) lgkmcnt(0)
	flat_store_byte v[100:101], v102 nt
	flat_store_byte v[100:101], v103 offset:64 nt
	flat_store_byte v[100:101], v112 offset:128 nt
	;; [unrolled: 1-line block ×15, first 2 shown]
	s_andn2_b64 exec, exec, s[44:45]
	s_cbranch_execnz .LBB8_260
; %bb.261:                              ;   in Loop: Header=BB8_77 Depth=1
	s_or_b64 exec, exec, s[44:45]
.LBB8_262:                              ;   in Loop: Header=BB8_77 Depth=1
	s_or_b64 exec, exec, s[42:43]
	v_lshlrev_b32_e32 v10, 10, v99
	v_cmp_ne_u32_e32 vcc, v13, v10
	s_and_b64 exec, exec, vcc
	s_cbranch_execz .LBB8_266
; %bb.263:                              ;   in Loop: Header=BB8_77 Depth=1
	v_ashrrev_i32_e32 v11, 31, v85
	v_lshrrev_b32_e32 v11, 26, v11
	v_add_u32_e32 v11, v85, v11
	v_and_b32_e32 v11, 0xffffffc0, v11
	v_sub_u32_e32 v11, v85, v11
	v_lshlrev_b32_e32 v85, 6, v98
	v_sub_u32_e32 v11, v11, v85
	v_add_u32_e32 v86, v10, v11
	v_sub_u32_e32 v85, v13, v86
	v_cmp_lt_i32_e32 vcc, 0, v85
	s_and_b64 exec, exec, vcc
	s_cbranch_execz .LBB8_266
; %bb.264:                              ;   in Loop: Header=BB8_77 Depth=1
	s_trap 2
	ds_read_b64 v[10:11], v0
	v_add_u32_e32 v12, v86, v12
	v_ashrrev_i32_e32 v13, 31, v12
	s_mov_b64 s[42:43], 0
.LBB8_265:                              ;   Parent Loop BB8_77 Depth=1
                                        ; =>  This Inner Loop Header: Depth=2
	s_waitcnt lgkmcnt(0)
	v_lshl_add_u64 v[86:87], v[10:11], 0, v[12:13]
	flat_load_ubyte v96, v[86:87] nt
	v_sub_u32_e32 v85, v85, v115
	v_cmp_gt_i32_e32 vcc, 1, v85
	v_lshl_add_u64 v[12:13], v[12:13], 0, v[68:69]
	s_or_b64 s[42:43], vcc, s[42:43]
	s_waitcnt vmcnt(0) lgkmcnt(0)
	flat_store_byte v[86:87], v96 nt
	s_andn2_b64 exec, exec, s[42:43]
	s_cbranch_execnz .LBB8_265
.LBB8_266:                              ;   in Loop: Header=BB8_77 Depth=1
	s_or_b64 exec, exec, s[40:41]
	v_cmp_lt_i32_e64 s[40:41], 0, v2
	s_and_saveexec_b64 s[42:43], s[10:11]
	s_cbranch_execnz .LBB8_274
.LBB8_267:                              ;   in Loop: Header=BB8_77 Depth=1
	s_or_b64 exec, exec, s[42:43]
                                        ; implicit-def: $vgpr2
	s_and_saveexec_b64 s[42:43], s[24:25]
	s_xor_b64 s[42:43], exec, s[42:43]
	s_cbranch_execz .LBB8_381
.LBB8_268:                              ;   in Loop: Header=BB8_77 Depth=1
	v_and_b32_e32 v10, 16, v114
	v_cmp_ne_u32_e32 vcc, 0, v10
	v_and_b32_e32 v2, 16, v114
	s_and_b64 s[44:45], vcc, s[40:41]
	s_and_saveexec_b64 s[40:41], s[44:45]
	s_cbranch_execz .LBB8_270
; %bb.269:                              ;   in Loop: Header=BB8_77 Depth=1
	v_mov_b32_e32 v2, 1
	buffer_wbl2 sc1
	s_waitcnt vmcnt(0) lgkmcnt(0)
	buffer_inv sc1
.LBB8_270:                              ;   in Loop: Header=BB8_77 Depth=1
	s_or_b64 exec, exec, s[40:41]
	s_andn2_saveexec_b64 s[40:41], s[42:43]
	s_cbranch_execz .LBB8_419
	s_branch .LBB8_382
.LBB8_271:                              ;   in Loop: Header=BB8_77 Depth=1
	s_mov_b64 s[40:41], 0
	s_and_saveexec_b64 s[42:43], s[10:11]
	s_cbranch_execnz .LBB8_274
	s_branch .LBB8_267
.LBB8_272:                              ;   in Loop: Header=BB8_77 Depth=1
	s_cbranch_execnz .LBB8_239
.LBB8_273:                              ;   in Loop: Header=BB8_77 Depth=1
	v_cmp_lt_i32_e64 s[40:41], 0, v2
	s_and_saveexec_b64 s[42:43], s[10:11]
	s_cbranch_execz .LBB8_267
.LBB8_274:                              ;   in Loop: Header=BB8_77 Depth=1
	s_and_saveexec_b64 s[44:45], s[60:61]
	s_xor_b64 s[44:45], exec, s[44:45]
	s_cbranch_execz .LBB8_378
; %bb.275:                              ;   in Loop: Header=BB8_77 Depth=1
	s_and_saveexec_b64 s[94:95], s[16:17]
	s_cbranch_execz .LBB8_377
; %bb.276:                              ;   in Loop: Header=BB8_77 Depth=1
	s_mov_b64 s[34:35], exec
	v_mbcnt_lo_u32_b32 v2, s34, 0
	v_mbcnt_hi_u32_b32 v2, s35, v2
	v_cmp_eq_u32_e32 vcc, 0, v2
	s_waitcnt lgkmcnt(0)
	s_and_saveexec_b64 s[30:31], vcc
	s_cbranch_execz .LBB8_278
; %bb.277:                              ;   in Loop: Header=BB8_77 Depth=1
	s_bcnt1_i32_b64 vcc_lo, s[34:35]
	v_mov_b32_e32 v2, vcc_lo
	ds_add_u64 v0, v[2:3]
	s_trap 2
.LBB8_278:                              ;   in Loop: Header=BB8_77 Depth=1
	s_or_b64 exec, exec, s[30:31]
	s_trap 2
	ds_read_b64 v[10:11], v0
	s_waitcnt lgkmcnt(0)
	v_lshl_add_u64 v[26:27], v[26:27], 0, v[34:35]
	v_cmp_lt_u64_e32 vcc, v[10:11], v[26:27]
	s_and_saveexec_b64 s[30:31], vcc
	s_cbranch_execz .LBB8_376
; %bb.279:                              ;   in Loop: Header=BB8_77 Depth=1
	s_mov_b32 s52, 0
	s_mov_b64 s[34:35], 0
                                        ; implicit-def: $sgpr36_sgpr37
                                        ; implicit-def: $sgpr38_sgpr39
	s_branch .LBB8_281
.LBB8_280:                              ;   in Loop: Header=BB8_281 Depth=2
	s_or_b64 exec, exec, s[50:51]
	s_and_b64 vcc, exec, vcc
	s_or_b64 s[34:35], vcc, s[34:35]
	s_andn2_b64 vcc, s[36:37], exec
	s_and_b64 s[36:37], s[38:39], exec
	s_or_b64 s[36:37], vcc, s[36:37]
	s_andn2_b64 exec, exec, s[34:35]
	s_cbranch_execz .LBB8_374
.LBB8_281:                              ;   Parent Loop BB8_77 Depth=1
                                        ; =>  This Inner Loop Header: Depth=2
	s_add_i32 s52, s52, 1
	s_cmpk_lg_i32 s52, 0x2710
	s_cselect_b64 s[48:49], -1, 0
	s_and_b64 vcc, exec, s[48:49]
	s_cbranch_vccz .LBB8_283
; %bb.282:                              ;   in Loop: Header=BB8_281 Depth=2
	s_mov_b64 vcc, -1
	s_or_b64 s[38:39], s[38:39], exec
	s_and_saveexec_b64 s[50:51], s[48:49]
	s_cbranch_execz .LBB8_280
	s_branch .LBB8_284
.LBB8_283:                              ;   in Loop: Header=BB8_281 Depth=2
	s_trap 2
	ds_read_b64 v[10:11], v0
	s_andn2_b64 s[48:49], s[48:49], exec
	s_mov_b32 s52, 0
	s_waitcnt vmcnt(0) lgkmcnt(0)
	flat_load_dword v2, v[10:11] sc0 sc1
	s_waitcnt vmcnt(0) lgkmcnt(0)
	buffer_inv sc0 sc1
	v_cmp_eq_u32_e32 vcc, 0, v2
	s_and_b64 vcc, vcc, exec
	s_or_b64 s[48:49], s[48:49], vcc
	s_mov_b64 vcc, -1
	s_or_b64 s[38:39], s[38:39], exec
	s_and_saveexec_b64 s[50:51], s[48:49]
	s_cbranch_execz .LBB8_280
.LBB8_284:                              ;   in Loop: Header=BB8_281 Depth=2
	s_sleep 1
	s_trap 2
	ds_read_b64 v[10:11], v0
	s_waitcnt lgkmcnt(0)
	s_andn2_b64 s[38:39], s[38:39], exec
	v_cmp_ge_u64_e32 vcc, v[10:11], v[26:27]
	s_orn2_b64 vcc, vcc, exec
	s_branch .LBB8_280
.LBB8_285:                              ;   in Loop: Header=BB8_77 Depth=1
	s_or_b64 exec, exec, s[34:35]
	s_and_saveexec_b64 vcc, s[36:37]
	s_xor_b64 vcc, exec, vcc
	s_cbranch_execz .LBB8_287
; %bb.286:                              ;   in Loop: Header=BB8_77 Depth=1
	ds_write_b32 v0, v116
	s_trap 2
.LBB8_287:                              ;   in Loop: Header=BB8_77 Depth=1
	s_or_b64 exec, exec, s[30:31]
	;;#ASMSTART
	s_wakeup
	;;#ASMEND
.LBB8_288:                              ;   in Loop: Header=BB8_77 Depth=1
	s_or_b64 exec, exec, s[44:45]
.LBB8_289:                              ;   in Loop: Header=BB8_77 Depth=1
	s_andn2_saveexec_b64 s[42:43], s[42:43]
	s_cbranch_execz .LBB8_291
; %bb.290:                              ;   in Loop: Header=BB8_77 Depth=1
	s_waitcnt lgkmcnt(0)
	s_barrier
.LBB8_291:                              ;   in Loop: Header=BB8_77 Depth=1
	s_or_b64 exec, exec, s[42:43]
.LBB8_292:                              ;   in Loop: Header=BB8_77 Depth=1
	s_or_b64 exec, exec, s[40:41]
	s_trap 2
	ds_read_b64 v[86:87], v0
	s_waitcnt lgkmcnt(0)
	v_cmp_eq_u64_e32 vcc, 0, v[86:87]
	s_cbranch_vccnz .LBB8_360
; %bb.293:                              ;   in Loop: Header=BB8_77 Depth=1
	s_trap 2
	ds_read_b64 v[96:97], v0
	s_waitcnt lgkmcnt(0)
	v_cmp_eq_u64_e32 vcc, 0, v[96:97]
	s_cbranch_vccnz .LBB8_360
; %bb.294:                              ;   in Loop: Header=BB8_77 Depth=1
	s_trap 2
	ds_read_b64 v[98:99], v0
	v_cmp_eq_u32_e64 s[40:41], 0, v10
	s_waitcnt lgkmcnt(0)
	v_cmp_ne_u64_e32 vcc, 0, v[98:99]
	v_cndmask_b32_e64 v2, 0, v84, s[40:41]
	s_cbranch_vccz .LBB8_361
; %bb.295:                              ;   in Loop: Header=BB8_77 Depth=1
	s_mov_b64 s[42:43], -1
	s_and_saveexec_b64 s[40:41], s[22:23]
	s_cbranch_execz .LBB8_297
; %bb.296:                              ;   in Loop: Header=BB8_77 Depth=1
	ds_read_b32 v10, v0 offset:720
	s_waitcnt lgkmcnt(0)
	v_and_b32_e32 v10, 15, v10
	v_cmp_eq_u32_e32 vcc, 0, v10
	s_orn2_b64 s[42:43], vcc, exec
.LBB8_297:                              ;   in Loop: Header=BB8_77 Depth=1
	s_or_b64 exec, exec, s[40:41]
	s_and_saveexec_b64 s[40:41], s[20:21]
	s_cbranch_execz .LBB8_299
; %bb.298:                              ;   in Loop: Header=BB8_77 Depth=1
	ds_read_b32 v10, v0 offset:784
	s_waitcnt lgkmcnt(0)
	v_and_b32_e32 v10, 15, v10
	v_cmp_eq_u32_e32 vcc, 0, v10
	s_and_b64 s[44:45], s[42:43], vcc
	s_andn2_b64 s[42:43], s[42:43], exec
	s_and_b64 s[44:45], s[44:45], exec
	s_or_b64 s[42:43], s[42:43], s[44:45]
.LBB8_299:                              ;   in Loop: Header=BB8_77 Depth=1
	s_or_b64 exec, exec, s[40:41]
	s_xor_b64 s[42:43], s[42:43], -1
	v_cndmask_b32_e64 v10, 0, 1, s[42:43]
	s_mov_b64 s[40:41], -1
	v_mov_b32_e32 v85, 0
	v_cmp_ne_u32_e32 vcc, 0, v10
	v_mov_b32_e32 v100, v2
	v_mov_b32_e32 v101, v0
	;; [unrolled: 1-line block ×3, first 2 shown]
	s_cbranch_vccnz .LBB8_315
; %bb.300:                              ;   in Loop: Header=BB8_77 Depth=1
	v_ashrrev_i32_e32 v10, 31, v2
	v_lshrrev_b32_e32 v10, 21, v10
	v_add_u32_e32 v10, v2, v10
	v_ashrrev_i32_e32 v85, 11, v10
	v_sub_u32_e32 v102, v85, v119
	v_cmp_lt_i32_e32 vcc, 0, v102
	s_and_saveexec_b64 s[40:41], vcc
	s_cbranch_execz .LBB8_304
; %bb.301:                              ;   in Loop: Header=BB8_77 Depth=1
	v_lshl_add_u64 v[10:11], v[86:87], 0, v[80:81]
	v_lshl_add_u64 v[12:13], v[96:97], 0, v[80:81]
	;; [unrolled: 1-line block ×3, first 2 shown]
	s_mov_b64 s[42:43], 0
.LBB8_302:                              ;   Parent Loop BB8_77 Depth=1
                                        ; =>  This Inner Loop Header: Depth=2
	global_load_dwordx4 v[42:45], v[10:11], off nt
	global_load_dwordx4 v[58:61], v[10:11], off offset:1024 nt
	v_sub_u32_e32 v102, v102, v34
	v_cmp_gt_i32_e32 vcc, 1, v102
	v_lshl_add_u64 v[10:11], v[10:11], 0, v[48:49]
	s_or_b64 s[42:43], vcc, s[42:43]
	s_waitcnt vmcnt(0)
	global_store_dwordx4 v[12:13], v[42:45], off
	global_store_dwordx4 v[12:13], v[58:61], off offset:1024
	global_store_dwordx4 v[100:101], v[42:45], off
	global_store_dwordx4 v[100:101], v[58:61], off offset:1024
	v_lshl_add_u64 v[12:13], v[12:13], 0, v[48:49]
	v_lshl_add_u64 v[100:101], v[100:101], 0, v[48:49]
	s_andn2_b64 exec, exec, s[42:43]
	s_cbranch_execnz .LBB8_302
; %bb.303:                              ;   in Loop: Header=BB8_77 Depth=1
	s_or_b64 exec, exec, s[42:43]
.LBB8_304:                              ;   in Loop: Header=BB8_77 Depth=1
	s_or_b64 exec, exec, s[40:41]
	v_lshlrev_b32_e32 v42, 11, v85
	v_cmp_ne_u32_e32 vcc, v2, v42
	s_mov_b64 s[40:41], 0
	v_mov_b32_e32 v85, 0
                                        ; implicit-def: $vgpr100
                                        ; implicit-def: $vgpr101
                                        ; implicit-def: $vgpr10
	s_and_saveexec_b64 s[30:31], vcc
	s_cbranch_execz .LBB8_314
; %bb.305:                              ;   in Loop: Header=BB8_77 Depth=1
	v_lshlrev_b32_e32 v10, 6, v102
	v_sub_u32_e32 v10, v40, v10
	v_ashrrev_i32_e32 v12, 31, v10
	v_lshrrev_b32_e32 v12, 26, v12
	v_add_u32_e32 v12, v10, v12
	v_sub_u32_e32 v11, v2, v42
	v_ashrrev_i32_e32 v13, 6, v12
	v_and_b32_e32 v12, 0xffffffc0, v12
	v_sub_u32_e32 v43, v10, v12
	v_ashrrev_i32_e32 v12, 31, v11
	v_lshrrev_b32_e32 v12, 22, v12
	v_add_u32_e32 v12, v11, v12
	v_and_b32_e32 v44, 0xfffffc00, v12
	v_lshlrev_b32_e32 v10, 4, v43
	v_sub_u32_e32 v46, v11, v44
	v_lshl_add_u32 v10, v13, 10, v10
	v_ashrrev_i32_e32 v100, 10, v12
	v_cmp_lt_i32_e64 s[40:41], 15, v46
	v_sub_u32_e32 v85, v11, v10
	s_nop 0
	v_addc_co_u32_e64 v11, vcc, 0, v100, s[40:41]
	v_sub_u32_e32 v45, v11, v13
	v_cmp_lt_i32_e32 vcc, 15, v85
	s_and_saveexec_b64 s[34:35], vcc
	s_cbranch_execz .LBB8_311
; %bb.306:                              ;   in Loop: Header=BB8_77 Depth=1
	v_add_u32_e32 v10, v10, v42
	v_ashrrev_i32_e32 v11, 31, v10
	v_lshl_add_u64 v[100:101], v[10:11], 0, v[86:87]
	v_lshl_add_u64 v[102:103], v[10:11], 0, v[96:97]
	;; [unrolled: 1-line block ×3, first 2 shown]
	s_mov_b64 s[36:37], 0
.LBB8_307:                              ;   Parent Loop BB8_77 Depth=1
                                        ; =>  This Loop Header: Depth=2
                                        ;       Child Loop BB8_308 Depth 3
	global_load_dwordx4 v[10:13], v[100:101], off nt
	s_mov_b64 s[38:39], -1
	s_mov_b64 s[48:49], 0
	s_waitcnt vmcnt(0)
.LBB8_308:                              ;   Parent Loop BB8_77 Depth=1
                                        ;     Parent Loop BB8_307 Depth=2
                                        ; =>    This Inner Loop Header: Depth=3
	s_cmp_eq_u32 s48, 1
	s_cselect_b64 vcc, -1, 0
	v_cndmask_b32_e32 v59, v103, v113, vcc
	s_cmp_eq_u32 s48, 0
	v_cndmask_b32_e32 v58, v102, v112, vcc
	global_store_dwordx4 v[58:59], v[10:13], off
	v_lshl_add_u64 v[58:59], v[58:59], 0, s[62:63]
	s_cselect_b64 s[42:43], -1, 0
	s_and_b64 s[44:45], exec, s[38:39]
	s_mov_b64 s[48:49], 1
	s_mov_b64 s[38:39], 0
	v_cndmask_b32_e32 v113, v113, v59, vcc
	v_cndmask_b32_e32 v112, v112, v58, vcc
	v_cndmask_b32_e64 v103, v103, v59, s[42:43]
	v_cndmask_b32_e64 v102, v102, v58, s[42:43]
	s_mov_b64 vcc, s[44:45]
	s_cbranch_vccnz .LBB8_308
; %bb.309:                              ;   in Loop: Header=BB8_307 Depth=2
	v_sub_u32_e32 v85, v85, v50
	v_cmp_gt_i32_e32 vcc, 16, v85
	v_lshl_add_u64 v[102:103], v[102:103], 0, v[64:65]
	v_lshl_add_u64 v[112:113], v[112:113], 0, v[64:65]
	;; [unrolled: 1-line block ×3, first 2 shown]
	s_or_b64 s[36:37], vcc, s[36:37]
	v_sub_u32_e32 v45, v45, v34
	s_andn2_b64 exec, exec, s[36:37]
	s_cbranch_execnz .LBB8_307
; %bb.310:                              ;   in Loop: Header=BB8_77 Depth=1
	s_or_b64 exec, exec, s[36:37]
.LBB8_311:                              ;   in Loop: Header=BB8_77 Depth=1
	s_or_b64 exec, exec, s[34:35]
	v_and_b32_e32 v11, 15, v2
	v_cndmask_b32_e64 v100, v46, v11, s[40:41]
	v_mov_b32_e32 v85, 0
	v_cmp_ne_u32_e32 vcc, 0, v100
	s_mov_b64 s[42:43], 0
                                        ; implicit-def: $vgpr101
                                        ; implicit-def: $vgpr10
	s_and_saveexec_b64 s[44:45], vcc
	s_cbranch_execz .LBB8_313
; %bb.312:                              ;   in Loop: Header=BB8_77 Depth=1
	v_sub_u32_e32 v10, v46, v11
	v_cndmask_b32_e64 v10, 0, v10, s[40:41]
	v_cmp_lt_i32_e32 vcc, 0, v45
	v_add3_u32 v85, v44, v42, v10
	s_mov_b64 s[42:43], exec
	v_cndmask_b32_e32 v10, 0, v34, vcc
	v_sub_u32_e32 v10, v10, v45
	v_lshl_add_u32 v101, v10, 6, v43
	v_ashrrev_i32_e32 v10, 31, v101
	v_lshrrev_b32_e32 v10, 26, v10
	v_add_u32_e32 v10, v101, v10
	v_ashrrev_i32_e32 v10, 6, v10
.LBB8_313:                              ;   in Loop: Header=BB8_77 Depth=1
	s_or_b64 exec, exec, s[44:45]
	s_and_b64 s[40:41], s[42:43], exec
.LBB8_314:                              ;   in Loop: Header=BB8_77 Depth=1
	s_or_b64 exec, exec, s[30:31]
.LBB8_315:                              ;   in Loop: Header=BB8_77 Depth=1
	s_and_saveexec_b64 s[44:45], s[40:41]
	s_cbranch_execz .LBB8_326
; %bb.316:                              ;   in Loop: Header=BB8_77 Depth=1
	v_ashrrev_i32_e32 v11, 31, v100
	v_lshrrev_b32_e32 v11, 22, v11
	v_add_u32_e32 v11, v100, v11
	v_ashrrev_i32_e32 v112, 10, v11
	v_sub_u32_e32 v102, v112, v10
	v_cmp_lt_i32_e32 vcc, 0, v102
	v_ashrrev_i32_e32 v103, 31, v101
	s_and_saveexec_b64 s[40:41], vcc
	s_cbranch_execz .LBB8_320
; %bb.317:                              ;   in Loop: Header=BB8_77 Depth=1
	v_lshrrev_b32_e32 v11, 26, v103
	v_add_u32_e32 v11, v101, v11
	v_and_b32_e32 v11, 0xffffffc0, v11
	v_sub_u32_e32 v11, v101, v11
	v_lshlrev_b32_e32 v10, 10, v10
	v_add3_u32 v42, v85, v11, v10
	v_ashrrev_i32_e32 v43, 31, v42
	v_lshl_add_u64 v[12:13], v[42:43], 0, v[98:99]
	v_lshl_add_u64 v[98:99], v[86:87], 0, s[74:75]
	;; [unrolled: 1-line block ×4, first 2 shown]
	s_mov_b64 s[42:43], 0
.LBB8_318:                              ;   Parent Loop BB8_77 Depth=1
                                        ; =>  This Inner Loop Header: Depth=2
	v_add_co_u32_e32 v42, vcc, 0xfffffc40, v98
	flat_load_ubyte v113, v[98:99] nt
	s_nop 0
	v_addc_co_u32_e32 v43, vcc, -1, v99, vcc
	v_add_co_u32_e32 v44, vcc, 0xfffffc80, v98
	flat_load_ubyte v46, v[42:43] nt
	s_nop 0
	v_addc_co_u32_e32 v45, vcc, -1, v99, vcc
	;; [unrolled: 4-line block ×15, first 2 shown]
	flat_load_ubyte v42, v[42:43] nt
	v_sub_u32_e32 v102, v102, v34
	v_cmp_gt_i32_e32 vcc, 1, v102
	s_or_b64 s[42:43], vcc, s[42:43]
	v_lshl_add_u64 v[98:99], v[98:99], 0, v[70:71]
	s_waitcnt vmcnt(0) lgkmcnt(0)
	flat_store_byte v[10:11], v113 offset:960 nt
	flat_store_byte v[10:11], v46 nt
	flat_store_byte v[10:11], v47 offset:64 nt
	flat_store_byte v[10:11], v58 offset:128 nt
	flat_store_byte v[10:11], v59 offset:192 nt
	flat_store_byte v[10:11], v60 offset:256 nt
	flat_store_byte v[10:11], v61 offset:320 nt
	flat_store_byte v[10:11], v62 offset:384 nt
	flat_store_byte v[10:11], v63 offset:448 nt
	flat_store_byte v[10:11], v72 offset:512 nt
	flat_store_byte v[10:11], v73 offset:576 nt
	flat_store_byte v[10:11], v74 offset:640 nt
	flat_store_byte v[10:11], v75 offset:704 nt
	flat_store_byte v[10:11], v76 offset:768 nt
	flat_store_byte v[10:11], v44 offset:832 nt
	flat_store_byte v[10:11], v42 offset:896 nt
	flat_store_byte v[12:13], v46 nt
	flat_store_byte v[12:13], v47 offset:64 nt
	flat_store_byte v[12:13], v58 offset:128 nt
	flat_store_byte v[12:13], v59 offset:192 nt
	flat_store_byte v[12:13], v60 offset:256 nt
	flat_store_byte v[12:13], v61 offset:320 nt
	flat_store_byte v[12:13], v62 offset:384 nt
	flat_store_byte v[12:13], v63 offset:448 nt
	flat_store_byte v[12:13], v72 offset:512 nt
	flat_store_byte v[12:13], v73 offset:576 nt
	flat_store_byte v[12:13], v74 offset:640 nt
	flat_store_byte v[12:13], v75 offset:704 nt
	flat_store_byte v[12:13], v76 offset:768 nt
	flat_store_byte v[12:13], v44 offset:832 nt
	flat_store_byte v[12:13], v42 offset:896 nt
	flat_store_byte v[12:13], v113 offset:960 nt
	v_lshl_add_u64 v[10:11], v[10:11], 0, v[50:51]
	v_lshl_add_u64 v[12:13], v[12:13], 0, v[50:51]
	s_andn2_b64 exec, exec, s[42:43]
	s_cbranch_execnz .LBB8_318
; %bb.319:                              ;   in Loop: Header=BB8_77 Depth=1
	s_or_b64 exec, exec, s[42:43]
.LBB8_320:                              ;   in Loop: Header=BB8_77 Depth=1
	s_or_b64 exec, exec, s[40:41]
	v_lshlrev_b32_e32 v10, 10, v112
	v_cmp_ne_u32_e32 vcc, v100, v10
	s_and_b64 exec, exec, vcc
	s_cbranch_execz .LBB8_326
; %bb.321:                              ;   in Loop: Header=BB8_77 Depth=1
	v_lshrrev_b32_e32 v11, 26, v103
	v_add_u32_e32 v11, v101, v11
	v_and_b32_e32 v11, 0xffffffc0, v11
	v_sub_u32_e32 v11, v101, v11
	v_lshlrev_b32_e32 v12, 6, v102
	v_sub_u32_e32 v11, v11, v12
	v_add_u32_e32 v10, v10, v11
	v_sub_u32_e32 v100, v100, v10
	v_cmp_lt_i32_e32 vcc, 0, v100
	s_and_b64 exec, exec, vcc
	s_cbranch_execz .LBB8_326
; %bb.322:                              ;   in Loop: Header=BB8_77 Depth=1
	s_trap 2
	ds_read_b64 v[12:13], v0
	ds_read_b128 v[42:45], v0
	v_add_u32_e32 v98, v10, v85
	v_ashrrev_i32_e32 v99, 31, v98
	s_mov_b64 s[30:31], 0
	s_waitcnt lgkmcnt(0)
	v_lshl_add_u64 v[10:11], v[12:13], 0, v[98:99]
	v_lshl_add_u64 v[12:13], v[42:43], 0, v[98:99]
	v_lshl_add_u64 v[98:99], v[44:45], 0, v[98:99]
.LBB8_323:                              ;   Parent Loop BB8_77 Depth=1
                                        ; =>  This Loop Header: Depth=2
                                        ;       Child Loop BB8_324 Depth 3
	flat_load_ubyte v85, v[10:11] nt
	s_mov_b64 s[34:35], -1
	s_mov_b64 s[36:37], 0
	s_waitcnt vmcnt(0)
.LBB8_324:                              ;   Parent Loop BB8_77 Depth=1
                                        ;     Parent Loop BB8_323 Depth=2
                                        ; =>    This Inner Loop Header: Depth=3
	s_cmp_eq_u32 s36, 1
	s_cselect_b64 vcc, -1, 0
	v_cndmask_b32_e32 v103, v13, v99, vcc
	s_cmp_eq_u32 s36, 0
	v_cndmask_b32_e32 v102, v12, v98, vcc
	s_waitcnt lgkmcnt(0)
	flat_store_byte v[102:103], v85 nt
	v_lshl_add_u64 v[102:103], v[102:103], 0, 64
	s_cselect_b64 s[40:41], -1, 0
	s_and_b64 s[42:43], exec, s[34:35]
	s_mov_b64 s[36:37], 1
	s_mov_b64 s[34:35], 0
	v_cndmask_b32_e32 v99, v99, v103, vcc
	v_cndmask_b32_e32 v98, v98, v102, vcc
	v_cndmask_b32_e64 v13, v13, v103, s[40:41]
	v_cndmask_b32_e64 v12, v12, v102, s[40:41]
	s_mov_b64 vcc, s[42:43]
	s_cbranch_vccnz .LBB8_324
; %bb.325:                              ;   in Loop: Header=BB8_323 Depth=2
	v_sub_u32_e32 v100, v100, v115
	v_cmp_gt_i32_e32 vcc, 1, v100
	v_lshl_add_u64 v[12:13], v[12:13], 0, v[52:53]
	v_lshl_add_u64 v[98:99], v[98:99], 0, v[52:53]
	s_or_b64 s[30:31], vcc, s[30:31]
	v_lshl_add_u64 v[10:11], v[68:69], 0, v[10:11]
	s_andn2_b64 exec, exec, s[30:31]
	s_cbranch_execnz .LBB8_323
.LBB8_326:                              ;   in Loop: Header=BB8_77 Depth=1
	s_or_b64 exec, exec, s[44:45]
	s_branch .LBB8_362
.LBB8_327:                              ;   in Loop: Header=BB8_77 Depth=1
	s_mov_b64 s[40:41], -1
	s_and_saveexec_b64 s[42:43], s[22:23]
	s_cbranch_execz .LBB8_329
; %bb.328:                              ;   in Loop: Header=BB8_77 Depth=1
	ds_read_b32 v10, v0 offset:720
	s_waitcnt lgkmcnt(0)
	v_and_b32_e32 v10, 15, v10
	v_cmp_eq_u32_e32 vcc, 0, v10
	s_orn2_b64 s[40:41], vcc, exec
.LBB8_329:                              ;   in Loop: Header=BB8_77 Depth=1
	s_or_b64 exec, exec, s[42:43]
	s_and_saveexec_b64 s[42:43], s[22:23]
	s_cbranch_execz .LBB8_331
; %bb.330:                              ;   in Loop: Header=BB8_77 Depth=1
	ds_read_b32 v10, v0 offset:784
	s_waitcnt lgkmcnt(0)
	v_and_b32_e32 v10, 15, v10
	v_cmp_eq_u32_e32 vcc, 0, v10
	s_and_b64 s[44:45], s[40:41], vcc
	s_andn2_b64 s[40:41], s[40:41], exec
	s_and_b64 s[44:45], s[44:45], exec
	s_or_b64 s[40:41], s[40:41], s[44:45]
.LBB8_331:                              ;   in Loop: Header=BB8_77 Depth=1
	s_or_b64 exec, exec, s[42:43]
	s_xor_b64 s[40:41], s[40:41], -1
	v_cndmask_b32_e64 v10, 0, 1, s[40:41]
	s_mov_b64 s[44:45], -1
	v_mov_b32_e32 v12, 0
	v_cmp_ne_u32_e32 vcc, 0, v10
	v_mov_b32_e32 v13, v2
	v_mov_b32_e32 v85, v0
	;; [unrolled: 1-line block ×3, first 2 shown]
	s_cbranch_vccnz .LBB8_345
; %bb.332:                              ;   in Loop: Header=BB8_77 Depth=1
	v_ashrrev_i32_e32 v10, 31, v2
	v_lshrrev_b32_e32 v10, 20, v10
	v_add_u32_e32 v10, v2, v10
	v_ashrrev_i32_e32 v85, 12, v10
	v_sub_u32_e32 v99, v85, v119
	v_cmp_lt_i32_e32 vcc, 0, v99
	s_and_saveexec_b64 s[40:41], vcc
	s_cbranch_execz .LBB8_336
; %bb.333:                              ;   in Loop: Header=BB8_77 Depth=1
	s_mov_b64 s[42:43], 0
	v_mov_b64_e32 v[10:11], v[96:97]
	v_mov_b64_e32 v[12:13], v[86:87]
.LBB8_334:                              ;   Parent Loop BB8_77 Depth=1
                                        ; =>  This Inner Loop Header: Depth=2
	v_lshl_add_u64 v[112:113], v[82:83], 0, v[12:13]
	global_load_dwordx4 v[100:103], v[112:113], off nt
	global_load_dwordx4 v[42:45], v[112:113], off offset:1024 nt
	global_load_dwordx4 v[58:61], v[112:113], off offset:2048 nt
	global_load_dwordx4 v[72:75], v[112:113], off offset:3072 nt
	v_sub_u32_e32 v99, v99, v34
	v_cmp_gt_i32_e32 vcc, 1, v99
	v_lshl_add_u64 v[112:113], v[82:83], 0, v[10:11]
	v_lshl_add_u64 v[12:13], v[12:13], 0, v[54:55]
	;; [unrolled: 1-line block ×3, first 2 shown]
	s_or_b64 s[42:43], vcc, s[42:43]
	s_waitcnt vmcnt(0)
	global_store_dwordx4 v[112:113], v[100:103], off
	global_store_dwordx4 v[112:113], v[42:45], off offset:1024
	global_store_dwordx4 v[112:113], v[58:61], off offset:2048
	;; [unrolled: 1-line block ×3, first 2 shown]
	s_andn2_b64 exec, exec, s[42:43]
	s_cbranch_execnz .LBB8_334
; %bb.335:                              ;   in Loop: Header=BB8_77 Depth=1
	s_or_b64 exec, exec, s[42:43]
.LBB8_336:                              ;   in Loop: Header=BB8_77 Depth=1
	s_or_b64 exec, exec, s[40:41]
	v_lshlrev_b32_e32 v98, 12, v85
	v_cmp_ne_u32_e32 vcc, v2, v98
	s_mov_b64 s[44:45], 0
	v_mov_b32_e32 v12, 0
                                        ; implicit-def: $vgpr13
                                        ; implicit-def: $vgpr85
                                        ; implicit-def: $vgpr10
	s_and_saveexec_b64 s[42:43], vcc
	s_cbranch_execz .LBB8_344
; %bb.337:                              ;   in Loop: Header=BB8_77 Depth=1
	v_lshlrev_b32_e32 v10, 6, v99
	v_sub_u32_e32 v10, v40, v10
	v_sub_u32_e32 v11, v2, v98
	v_ashrrev_i32_e32 v12, 31, v10
	v_lshrrev_b32_e32 v12, 26, v12
	v_ashrrev_i32_e32 v85, 31, v11
	v_add_u32_e32 v12, v10, v12
	v_lshrrev_b32_e32 v85, 22, v85
	v_ashrrev_i32_e32 v13, 6, v12
	v_and_b32_e32 v12, 0xffffffc0, v12
	v_add_u32_e32 v85, v11, v85
	v_sub_u32_e32 v99, v10, v12
	v_and_b32_e32 v100, 0xfffffc00, v85
	v_lshlrev_b32_e32 v10, 4, v99
	v_sub_u32_e32 v102, v11, v100
	v_lshl_add_u32 v10, v13, 10, v10
	v_ashrrev_i32_e32 v101, 10, v85
	v_cmp_lt_i32_e32 vcc, 15, v102
	v_sub_u32_e32 v12, v11, v10
	s_nop 0
	v_addc_co_u32_e64 v11, s[40:41], 0, v101, vcc
	v_sub_u32_e32 v101, v11, v13
	v_cmp_lt_i32_e64 s[40:41], 15, v12
	s_and_saveexec_b64 s[44:45], s[40:41]
	s_cbranch_execz .LBB8_341
; %bb.338:                              ;   in Loop: Header=BB8_77 Depth=1
	v_add_u32_e32 v10, v10, v98
	v_ashrrev_i32_e32 v11, 31, v10
	s_mov_b64 s[30:31], 0
.LBB8_339:                              ;   Parent Loop BB8_77 Depth=1
                                        ; =>  This Inner Loop Header: Depth=2
	v_lshl_add_u64 v[112:113], v[86:87], 0, v[10:11]
	global_load_dwordx4 v[42:45], v[112:113], off nt
	v_sub_u32_e32 v12, v12, v50
	v_cmp_gt_i32_e64 s[40:41], 16, v12
	v_lshl_add_u64 v[112:113], v[96:97], 0, v[10:11]
	v_sub_u32_e32 v101, v101, v34
	v_lshl_add_u64 v[10:11], v[10:11], 0, v[70:71]
	s_or_b64 s[30:31], s[40:41], s[30:31]
	s_waitcnt vmcnt(0)
	global_store_dwordx4 v[112:113], v[42:45], off
	s_andn2_b64 exec, exec, s[30:31]
	s_cbranch_execnz .LBB8_339
; %bb.340:                              ;   in Loop: Header=BB8_77 Depth=1
	s_or_b64 exec, exec, s[30:31]
.LBB8_341:                              ;   in Loop: Header=BB8_77 Depth=1
	s_or_b64 exec, exec, s[44:45]
	v_and_b32_e32 v11, 15, v2
	v_cndmask_b32_e32 v13, v102, v11, vcc
	v_mov_b32_e32 v12, 0
	v_cmp_ne_u32_e64 s[40:41], 0, v13
	s_mov_b64 s[44:45], 0
                                        ; implicit-def: $vgpr85
                                        ; implicit-def: $vgpr10
	s_and_saveexec_b64 s[30:31], s[40:41]
	s_cbranch_execz .LBB8_343
; %bb.342:                              ;   in Loop: Header=BB8_77 Depth=1
	v_sub_u32_e32 v10, v102, v11
	v_cndmask_b32_e32 v10, 0, v10, vcc
	v_cmp_lt_i32_e32 vcc, 0, v101
	v_add3_u32 v12, v100, v98, v10
	s_mov_b64 s[44:45], exec
	v_cndmask_b32_e32 v10, 0, v34, vcc
	v_sub_u32_e32 v10, v10, v101
	v_lshl_add_u32 v85, v10, 6, v99
	v_ashrrev_i32_e32 v10, 31, v85
	v_lshrrev_b32_e32 v10, 26, v10
	v_add_u32_e32 v10, v85, v10
	v_ashrrev_i32_e32 v10, 6, v10
.LBB8_343:                              ;   in Loop: Header=BB8_77 Depth=1
	s_or_b64 exec, exec, s[30:31]
	s_and_b64 s[44:45], s[44:45], exec
.LBB8_344:                              ;   in Loop: Header=BB8_77 Depth=1
	s_or_b64 exec, exec, s[42:43]
.LBB8_345:                              ;   in Loop: Header=BB8_77 Depth=1
	s_and_saveexec_b64 s[40:41], s[44:45]
	s_cbranch_execz .LBB8_354
; %bb.346:                              ;   in Loop: Header=BB8_77 Depth=1
	v_ashrrev_i32_e32 v11, 31, v13
	v_lshrrev_b32_e32 v11, 22, v11
	v_add_u32_e32 v11, v13, v11
	v_ashrrev_i32_e32 v99, 10, v11
	v_sub_u32_e32 v98, v99, v10
	v_cmp_lt_i32_e32 vcc, 0, v98
	s_and_saveexec_b64 s[42:43], vcc
	s_cbranch_execz .LBB8_350
; %bb.347:                              ;   in Loop: Header=BB8_77 Depth=1
	v_ashrrev_i32_e32 v11, 31, v85
	v_lshrrev_b32_e32 v11, 26, v11
	v_add_u32_e32 v11, v85, v11
	v_and_b32_e32 v11, 0xffffffc0, v11
	v_sub_u32_e32 v11, v85, v11
	v_lshlrev_b32_e32 v10, 10, v10
	v_add3_u32 v10, v12, v11, v10
	v_ashrrev_i32_e32 v11, 31, v10
	s_mov_b64 s[44:45], 0
.LBB8_348:                              ;   Parent Loop BB8_77 Depth=1
                                        ; =>  This Inner Loop Header: Depth=2
	v_lshl_add_u64 v[100:101], v[10:11], 0, v[86:87]
	flat_load_ubyte v102, v[100:101] nt
	flat_load_ubyte v103, v[100:101] offset:64 nt
	flat_load_ubyte v112, v[100:101] offset:128 nt
	;; [unrolled: 1-line block ×15, first 2 shown]
	v_sub_u32_e32 v98, v98, v34
	v_cmp_gt_i32_e32 vcc, 1, v98
	v_lshl_add_u64 v[100:101], v[10:11], 0, v[96:97]
	v_lshl_add_u64 v[86:87], v[86:87], 0, v[70:71]
	;; [unrolled: 1-line block ×3, first 2 shown]
	s_or_b64 s[44:45], vcc, s[44:45]
	s_waitcnt vmcnt(0) lgkmcnt(0)
	flat_store_byte v[100:101], v102 nt
	flat_store_byte v[100:101], v103 offset:64 nt
	flat_store_byte v[100:101], v112 offset:128 nt
	;; [unrolled: 1-line block ×15, first 2 shown]
	s_andn2_b64 exec, exec, s[44:45]
	s_cbranch_execnz .LBB8_348
; %bb.349:                              ;   in Loop: Header=BB8_77 Depth=1
	s_or_b64 exec, exec, s[44:45]
.LBB8_350:                              ;   in Loop: Header=BB8_77 Depth=1
	s_or_b64 exec, exec, s[42:43]
	v_lshlrev_b32_e32 v10, 10, v99
	v_cmp_ne_u32_e32 vcc, v13, v10
	s_and_b64 exec, exec, vcc
	s_cbranch_execz .LBB8_354
; %bb.351:                              ;   in Loop: Header=BB8_77 Depth=1
	v_ashrrev_i32_e32 v11, 31, v85
	v_lshrrev_b32_e32 v11, 26, v11
	v_add_u32_e32 v11, v85, v11
	v_and_b32_e32 v11, 0xffffffc0, v11
	v_sub_u32_e32 v11, v85, v11
	v_lshlrev_b32_e32 v85, 6, v98
	v_sub_u32_e32 v11, v11, v85
	v_add_u32_e32 v86, v10, v11
	v_sub_u32_e32 v85, v13, v86
	v_cmp_lt_i32_e32 vcc, 0, v85
	s_and_b64 exec, exec, vcc
	s_cbranch_execz .LBB8_354
; %bb.352:                              ;   in Loop: Header=BB8_77 Depth=1
	s_trap 2
	ds_read_b64 v[10:11], v0
	v_add_u32_e32 v12, v86, v12
	v_ashrrev_i32_e32 v13, 31, v12
	s_mov_b64 s[42:43], 0
.LBB8_353:                              ;   Parent Loop BB8_77 Depth=1
                                        ; =>  This Inner Loop Header: Depth=2
	s_waitcnt lgkmcnt(0)
	v_lshl_add_u64 v[86:87], v[10:11], 0, v[12:13]
	flat_load_ubyte v96, v[86:87] nt
	v_sub_u32_e32 v85, v85, v115
	v_cmp_gt_i32_e32 vcc, 1, v85
	v_lshl_add_u64 v[12:13], v[12:13], 0, v[68:69]
	s_or_b64 s[42:43], vcc, s[42:43]
	s_waitcnt vmcnt(0) lgkmcnt(0)
	flat_store_byte v[86:87], v96 nt
	s_andn2_b64 exec, exec, s[42:43]
	s_cbranch_execnz .LBB8_353
.LBB8_354:                              ;   in Loop: Header=BB8_77 Depth=1
	s_or_b64 exec, exec, s[40:41]
	v_cmp_lt_i32_e64 s[40:41], 0, v2
	s_and_saveexec_b64 s[42:43], s[10:11]
	s_cbranch_execnz .LBB8_363
.LBB8_355:                              ;   in Loop: Header=BB8_77 Depth=1
	s_or_b64 exec, exec, s[42:43]
                                        ; implicit-def: $vgpr2
	s_and_saveexec_b64 s[42:43], s[24:25]
	s_xor_b64 s[42:43], exec, s[42:43]
	s_cbranch_execz .LBB8_400
.LBB8_356:                              ;   in Loop: Header=BB8_77 Depth=1
	v_and_b32_e32 v10, 16, v114
	v_cmp_ne_u32_e32 vcc, 0, v10
	v_and_b32_e32 v2, 16, v114
	s_and_b64 s[44:45], vcc, s[40:41]
	s_and_saveexec_b64 s[40:41], s[44:45]
	s_cbranch_execz .LBB8_358
; %bb.357:                              ;   in Loop: Header=BB8_77 Depth=1
	v_mov_b32_e32 v2, 1
	buffer_wbl2 sc1
	s_waitcnt vmcnt(0) lgkmcnt(0)
	buffer_inv sc1
.LBB8_358:                              ;   in Loop: Header=BB8_77 Depth=1
	s_or_b64 exec, exec, s[40:41]
	s_andn2_saveexec_b64 s[40:41], s[42:43]
	s_cbranch_execnz .LBB8_401
.LBB8_359:                              ;   in Loop: Header=BB8_77 Depth=1
	s_or_b64 exec, exec, s[40:41]
	v_cmp_ne_u32_e32 vcc, 0, v2
	s_and_saveexec_b64 s[40:41], vcc
	s_cbranch_execnz .LBB8_474
	s_branch .LBB8_477
.LBB8_360:                              ;   in Loop: Header=BB8_77 Depth=1
	s_mov_b64 s[40:41], 0
	s_and_saveexec_b64 s[42:43], s[10:11]
	s_cbranch_execnz .LBB8_363
	s_branch .LBB8_355
.LBB8_361:                              ;   in Loop: Header=BB8_77 Depth=1
	s_cbranch_execnz .LBB8_327
.LBB8_362:                              ;   in Loop: Header=BB8_77 Depth=1
	v_cmp_lt_i32_e64 s[40:41], 0, v2
	s_and_saveexec_b64 s[42:43], s[10:11]
	s_cbranch_execz .LBB8_355
.LBB8_363:                              ;   in Loop: Header=BB8_77 Depth=1
	s_and_saveexec_b64 s[44:45], s[60:61]
	s_xor_b64 s[44:45], exec, s[44:45]
	s_cbranch_execz .LBB8_397
; %bb.364:                              ;   in Loop: Header=BB8_77 Depth=1
	s_and_saveexec_b64 s[30:31], s[16:17]
	s_cbranch_execz .LBB8_396
; %bb.365:                              ;   in Loop: Header=BB8_77 Depth=1
	s_mov_b64 s[36:37], exec
	v_mbcnt_lo_u32_b32 v2, s36, 0
	v_mbcnt_hi_u32_b32 v2, s37, v2
	v_cmp_eq_u32_e32 vcc, 0, v2
	s_waitcnt lgkmcnt(0)
	s_and_saveexec_b64 s[34:35], vcc
	s_cbranch_execz .LBB8_367
; %bb.366:                              ;   in Loop: Header=BB8_77 Depth=1
	s_bcnt1_i32_b64 vcc_lo, s[36:37]
	v_mov_b32_e32 v2, vcc_lo
	ds_add_u64 v0, v[2:3]
	s_trap 2
.LBB8_367:                              ;   in Loop: Header=BB8_77 Depth=1
	s_or_b64 exec, exec, s[34:35]
	s_trap 2
	ds_read_b64 v[10:11], v0
	s_waitcnt lgkmcnt(0)
	v_lshl_add_u64 v[26:27], v[26:27], 0, v[34:35]
	v_cmp_lt_u64_e32 vcc, v[10:11], v[26:27]
	s_and_saveexec_b64 s[34:35], vcc
	s_cbranch_execz .LBB8_395
; %bb.368:                              ;   in Loop: Header=BB8_77 Depth=1
	s_mov_b32 s54, 0
	s_mov_b64 s[36:37], 0
                                        ; implicit-def: $sgpr38_sgpr39
                                        ; implicit-def: $sgpr48_sgpr49
	s_branch .LBB8_370
.LBB8_369:                              ;   in Loop: Header=BB8_370 Depth=2
	s_or_b64 exec, exec, s[52:53]
	s_and_b64 vcc, exec, vcc
	s_or_b64 s[36:37], vcc, s[36:37]
	s_andn2_b64 vcc, s[38:39], exec
	s_and_b64 s[38:39], s[48:49], exec
	s_or_b64 s[38:39], vcc, s[38:39]
	s_andn2_b64 exec, exec, s[36:37]
	s_cbranch_execz .LBB8_393
.LBB8_370:                              ;   Parent Loop BB8_77 Depth=1
                                        ; =>  This Inner Loop Header: Depth=2
	s_add_i32 s54, s54, 1
	s_cmpk_lg_i32 s54, 0x2710
	s_cselect_b64 s[50:51], -1, 0
	s_and_b64 vcc, exec, s[50:51]
	s_cbranch_vccz .LBB8_372
; %bb.371:                              ;   in Loop: Header=BB8_370 Depth=2
	s_mov_b64 vcc, -1
	s_or_b64 s[48:49], s[48:49], exec
	s_and_saveexec_b64 s[52:53], s[50:51]
	s_cbranch_execz .LBB8_369
	s_branch .LBB8_373
.LBB8_372:                              ;   in Loop: Header=BB8_370 Depth=2
	s_trap 2
	ds_read_b64 v[10:11], v0
	s_andn2_b64 s[50:51], s[50:51], exec
	s_mov_b32 s54, 0
	s_waitcnt vmcnt(0) lgkmcnt(0)
	flat_load_dword v2, v[10:11] sc0 sc1
	s_waitcnt vmcnt(0) lgkmcnt(0)
	buffer_inv sc0 sc1
	v_cmp_eq_u32_e32 vcc, 0, v2
	s_and_b64 vcc, vcc, exec
	s_or_b64 s[50:51], s[50:51], vcc
	s_mov_b64 vcc, -1
	s_or_b64 s[48:49], s[48:49], exec
	s_and_saveexec_b64 s[52:53], s[50:51]
	s_cbranch_execz .LBB8_369
.LBB8_373:                              ;   in Loop: Header=BB8_370 Depth=2
	s_sleep 1
	s_trap 2
	ds_read_b64 v[10:11], v0
	s_waitcnt lgkmcnt(0)
	s_andn2_b64 s[48:49], s[48:49], exec
	v_cmp_ge_u64_e32 vcc, v[10:11], v[26:27]
	s_orn2_b64 vcc, vcc, exec
	s_branch .LBB8_369
.LBB8_374:                              ;   in Loop: Header=BB8_77 Depth=1
	s_or_b64 exec, exec, s[34:35]
	s_and_saveexec_b64 vcc, s[36:37]
	s_xor_b64 vcc, exec, vcc
	s_cbranch_execz .LBB8_376
; %bb.375:                              ;   in Loop: Header=BB8_77 Depth=1
	ds_write_b32 v0, v116
	s_trap 2
.LBB8_376:                              ;   in Loop: Header=BB8_77 Depth=1
	s_or_b64 exec, exec, s[30:31]
	;;#ASMSTART
	s_wakeup
	;;#ASMEND
.LBB8_377:                              ;   in Loop: Header=BB8_77 Depth=1
	s_or_b64 exec, exec, s[94:95]
.LBB8_378:                              ;   in Loop: Header=BB8_77 Depth=1
	s_andn2_saveexec_b64 s[44:45], s[44:45]
	s_cbranch_execz .LBB8_380
; %bb.379:                              ;   in Loop: Header=BB8_77 Depth=1
	s_waitcnt lgkmcnt(0)
	s_barrier
.LBB8_380:                              ;   in Loop: Header=BB8_77 Depth=1
	s_or_b64 exec, exec, s[44:45]
	s_or_b64 exec, exec, s[42:43]
                                        ; implicit-def: $vgpr2
	s_and_saveexec_b64 s[42:43], s[24:25]
	s_xor_b64 s[42:43], exec, s[42:43]
	s_cbranch_execnz .LBB8_268
.LBB8_381:                              ;   in Loop: Header=BB8_77 Depth=1
	s_andn2_saveexec_b64 s[40:41], s[42:43]
	s_cbranch_execz .LBB8_419
.LBB8_382:                              ;   in Loop: Header=BB8_77 Depth=1
	s_and_saveexec_b64 s[42:43], s[60:61]
	s_xor_b64 s[42:43], exec, s[42:43]
	s_cbranch_execz .LBB8_416
; %bb.383:                              ;   in Loop: Header=BB8_77 Depth=1
	s_and_saveexec_b64 s[44:45], s[16:17]
	s_cbranch_execz .LBB8_415
; %bb.384:                              ;   in Loop: Header=BB8_77 Depth=1
	s_mov_b64 s[30:31], exec
	v_mbcnt_lo_u32_b32 v2, s30, 0
	v_mbcnt_hi_u32_b32 v2, s31, v2
	v_cmp_eq_u32_e32 vcc, 0, v2
	;;#ASMSTART
	s_waitcnt lgkmcnt(0) vmcnt(0)
	;;#ASMEND
	s_and_saveexec_b64 s[94:95], vcc
	s_cbranch_execz .LBB8_386
; %bb.385:                              ;   in Loop: Header=BB8_77 Depth=1
	s_bcnt1_i32_b64 vcc_lo, s[30:31]
	v_mov_b32_e32 v2, vcc_lo
	s_waitcnt lgkmcnt(0)
	ds_add_u64 v0, v[2:3]
	s_trap 2
.LBB8_386:                              ;   in Loop: Header=BB8_77 Depth=1
	s_or_b64 exec, exec, s[94:95]
	s_trap 2
	ds_read_b64 v[10:11], v0
	s_waitcnt lgkmcnt(0)
	v_lshl_add_u64 v[26:27], v[26:27], 0, v[34:35]
	v_cmp_lt_u64_e32 vcc, v[10:11], v[26:27]
	s_and_saveexec_b64 s[94:95], vcc
	s_cbranch_execz .LBB8_414
; %bb.387:                              ;   in Loop: Header=BB8_77 Depth=1
	s_mov_b32 s50, 0
	s_mov_b64 s[30:31], 0
                                        ; implicit-def: $sgpr34_sgpr35
                                        ; implicit-def: $sgpr36_sgpr37
	s_branch .LBB8_389
.LBB8_388:                              ;   in Loop: Header=BB8_389 Depth=2
	s_or_b64 exec, exec, s[48:49]
	s_and_b64 vcc, exec, vcc
	s_or_b64 s[30:31], vcc, s[30:31]
	s_andn2_b64 vcc, s[34:35], exec
	s_and_b64 s[34:35], s[36:37], exec
	s_or_b64 s[34:35], vcc, s[34:35]
	s_andn2_b64 exec, exec, s[30:31]
	s_cbranch_execz .LBB8_412
.LBB8_389:                              ;   Parent Loop BB8_77 Depth=1
                                        ; =>  This Inner Loop Header: Depth=2
	s_add_i32 s50, s50, 1
	s_cmpk_lg_i32 s50, 0x2710
	s_cselect_b64 s[38:39], -1, 0
	s_and_b64 vcc, exec, s[38:39]
	s_cbranch_vccz .LBB8_391
; %bb.390:                              ;   in Loop: Header=BB8_389 Depth=2
	s_mov_b64 vcc, -1
	s_or_b64 s[36:37], s[36:37], exec
	s_and_saveexec_b64 s[48:49], s[38:39]
	s_cbranch_execz .LBB8_388
	s_branch .LBB8_392
.LBB8_391:                              ;   in Loop: Header=BB8_389 Depth=2
	s_trap 2
	ds_read_b64 v[10:11], v0
	s_andn2_b64 s[38:39], s[38:39], exec
	s_mov_b32 s50, 0
	s_waitcnt vmcnt(0) lgkmcnt(0)
	flat_load_dword v2, v[10:11] sc0 sc1
	s_waitcnt vmcnt(0) lgkmcnt(0)
	buffer_inv sc0 sc1
	v_cmp_eq_u32_e32 vcc, 0, v2
	s_and_b64 vcc, vcc, exec
	s_or_b64 s[38:39], s[38:39], vcc
	s_mov_b64 vcc, -1
	s_or_b64 s[36:37], s[36:37], exec
	s_and_saveexec_b64 s[48:49], s[38:39]
	s_cbranch_execz .LBB8_388
.LBB8_392:                              ;   in Loop: Header=BB8_389 Depth=2
	s_sleep 1
	s_trap 2
	ds_read_b64 v[10:11], v0
	s_waitcnt lgkmcnt(0)
	s_andn2_b64 s[36:37], s[36:37], exec
	v_cmp_ge_u64_e32 vcc, v[10:11], v[26:27]
	s_orn2_b64 vcc, vcc, exec
	s_branch .LBB8_388
.LBB8_393:                              ;   in Loop: Header=BB8_77 Depth=1
	s_or_b64 exec, exec, s[36:37]
	s_and_saveexec_b64 vcc, s[38:39]
	s_xor_b64 vcc, exec, vcc
	s_cbranch_execz .LBB8_395
; %bb.394:                              ;   in Loop: Header=BB8_77 Depth=1
	ds_write_b32 v0, v116
	s_trap 2
.LBB8_395:                              ;   in Loop: Header=BB8_77 Depth=1
	s_or_b64 exec, exec, s[34:35]
	;;#ASMSTART
	s_wakeup
	;;#ASMEND
.LBB8_396:                              ;   in Loop: Header=BB8_77 Depth=1
	s_or_b64 exec, exec, s[30:31]
.LBB8_397:                              ;   in Loop: Header=BB8_77 Depth=1
	s_andn2_saveexec_b64 s[44:45], s[44:45]
	s_cbranch_execz .LBB8_399
; %bb.398:                              ;   in Loop: Header=BB8_77 Depth=1
	s_waitcnt lgkmcnt(0)
	s_barrier
.LBB8_399:                              ;   in Loop: Header=BB8_77 Depth=1
	s_or_b64 exec, exec, s[44:45]
	s_or_b64 exec, exec, s[42:43]
                                        ; implicit-def: $vgpr2
	s_and_saveexec_b64 s[42:43], s[24:25]
	s_xor_b64 s[42:43], exec, s[42:43]
	s_cbranch_execnz .LBB8_356
.LBB8_400:                              ;   in Loop: Header=BB8_77 Depth=1
	s_andn2_saveexec_b64 s[40:41], s[42:43]
	s_cbranch_execz .LBB8_359
.LBB8_401:                              ;   in Loop: Header=BB8_77 Depth=1
	s_and_saveexec_b64 s[42:43], s[60:61]
	s_xor_b64 s[42:43], exec, s[42:43]
	s_cbranch_execz .LBB8_471
; %bb.402:                              ;   in Loop: Header=BB8_77 Depth=1
	s_and_saveexec_b64 s[44:45], s[16:17]
	s_cbranch_execz .LBB8_470
; %bb.403:                              ;   in Loop: Header=BB8_77 Depth=1
	s_mov_b64 s[34:35], exec
	v_mbcnt_lo_u32_b32 v2, s34, 0
	v_mbcnt_hi_u32_b32 v2, s35, v2
	v_cmp_eq_u32_e32 vcc, 0, v2
	;;#ASMSTART
	s_waitcnt lgkmcnt(0) vmcnt(0)
	;;#ASMEND
	s_and_saveexec_b64 s[30:31], vcc
	s_cbranch_execz .LBB8_405
; %bb.404:                              ;   in Loop: Header=BB8_77 Depth=1
	s_bcnt1_i32_b64 vcc_lo, s[34:35]
	v_mov_b32_e32 v2, vcc_lo
	s_waitcnt lgkmcnt(0)
	ds_add_u64 v0, v[2:3]
	s_trap 2
.LBB8_405:                              ;   in Loop: Header=BB8_77 Depth=1
	s_or_b64 exec, exec, s[30:31]
	s_trap 2
	ds_read_b64 v[10:11], v0
	s_waitcnt lgkmcnt(0)
	v_lshl_add_u64 v[26:27], v[26:27], 0, v[34:35]
	v_cmp_lt_u64_e32 vcc, v[10:11], v[26:27]
	s_and_saveexec_b64 s[30:31], vcc
	s_cbranch_execz .LBB8_469
; %bb.406:                              ;   in Loop: Header=BB8_77 Depth=1
	s_mov_b32 s52, 0
	s_mov_b64 s[34:35], 0
                                        ; implicit-def: $sgpr36_sgpr37
                                        ; implicit-def: $sgpr38_sgpr39
	s_branch .LBB8_408
.LBB8_407:                              ;   in Loop: Header=BB8_408 Depth=2
	s_or_b64 exec, exec, s[50:51]
	s_and_b64 vcc, exec, vcc
	s_or_b64 s[34:35], vcc, s[34:35]
	s_andn2_b64 vcc, s[36:37], exec
	s_and_b64 s[36:37], s[38:39], exec
	s_or_b64 s[36:37], vcc, s[36:37]
	s_andn2_b64 exec, exec, s[34:35]
	s_cbranch_execz .LBB8_467
.LBB8_408:                              ;   Parent Loop BB8_77 Depth=1
                                        ; =>  This Inner Loop Header: Depth=2
	s_add_i32 s52, s52, 1
	s_cmpk_lg_i32 s52, 0x2710
	s_cselect_b64 s[48:49], -1, 0
	s_and_b64 vcc, exec, s[48:49]
	s_cbranch_vccz .LBB8_410
; %bb.409:                              ;   in Loop: Header=BB8_408 Depth=2
	s_mov_b64 vcc, -1
	s_or_b64 s[38:39], s[38:39], exec
	s_and_saveexec_b64 s[50:51], s[48:49]
	s_cbranch_execz .LBB8_407
	s_branch .LBB8_411
.LBB8_410:                              ;   in Loop: Header=BB8_408 Depth=2
	s_trap 2
	ds_read_b64 v[10:11], v0
	s_andn2_b64 s[48:49], s[48:49], exec
	s_mov_b32 s52, 0
	s_waitcnt vmcnt(0) lgkmcnt(0)
	flat_load_dword v2, v[10:11] sc0 sc1
	s_waitcnt vmcnt(0) lgkmcnt(0)
	buffer_inv sc0 sc1
	v_cmp_eq_u32_e32 vcc, 0, v2
	s_and_b64 vcc, vcc, exec
	s_or_b64 s[48:49], s[48:49], vcc
	s_mov_b64 vcc, -1
	s_or_b64 s[38:39], s[38:39], exec
	s_and_saveexec_b64 s[50:51], s[48:49]
	s_cbranch_execz .LBB8_407
.LBB8_411:                              ;   in Loop: Header=BB8_408 Depth=2
	s_sleep 1
	s_trap 2
	ds_read_b64 v[10:11], v0
	s_waitcnt lgkmcnt(0)
	s_andn2_b64 s[38:39], s[38:39], exec
	v_cmp_ge_u64_e32 vcc, v[10:11], v[26:27]
	s_orn2_b64 vcc, vcc, exec
	s_branch .LBB8_407
.LBB8_412:                              ;   in Loop: Header=BB8_77 Depth=1
	s_or_b64 exec, exec, s[30:31]
	s_and_saveexec_b64 vcc, s[34:35]
	s_xor_b64 vcc, exec, vcc
	s_cbranch_execz .LBB8_414
; %bb.413:                              ;   in Loop: Header=BB8_77 Depth=1
	ds_write_b32 v0, v116
	s_trap 2
.LBB8_414:                              ;   in Loop: Header=BB8_77 Depth=1
	s_or_b64 exec, exec, s[94:95]
	;;#ASMSTART
	s_wakeup
	;;#ASMEND
.LBB8_415:                              ;   in Loop: Header=BB8_77 Depth=1
	s_or_b64 exec, exec, s[44:45]
.LBB8_416:                              ;   in Loop: Header=BB8_77 Depth=1
	s_andn2_saveexec_b64 s[42:43], s[42:43]
	s_cbranch_execz .LBB8_418
; %bb.417:                              ;   in Loop: Header=BB8_77 Depth=1
	;;#ASMSTART
	s_waitcnt lgkmcnt(0) vmcnt(0)
	;;#ASMEND
	s_barrier
.LBB8_418:                              ;   in Loop: Header=BB8_77 Depth=1
	s_or_b64 exec, exec, s[42:43]
	v_and_b32_e32 v2, 16, v114
.LBB8_419:                              ;   in Loop: Header=BB8_77 Depth=1
	s_or_b64 exec, exec, s[40:41]
	v_cmp_ne_u32_e32 vcc, 0, v2
	s_xor_b64 s[40:41], s[12:13], -1
	s_and_b64 s[42:43], vcc, s[40:41]
	s_and_saveexec_b64 s[40:41], s[42:43]
	s_cbranch_execz .LBB8_421
; %bb.420:                              ;   in Loop: Header=BB8_77 Depth=1
	flat_store_dword v[28:29], v116 sc0 sc1
.LBB8_421:                              ;   in Loop: Header=BB8_77 Depth=1
	s_or_b64 exec, exec, s[40:41]
	v_and_b32_e32 v2, 48, v114
	v_cmp_ne_u32_e32 vcc, 0, v2
	s_and_saveexec_b64 s[40:41], vcc
	s_cbranch_execz .LBB8_423
; %bb.422:                              ;   in Loop: Header=BB8_77 Depth=1
	v_lshl_add_u64 v[8:9], v[8:9], 0, 1
	flat_store_dwordx2 v[20:21], v[8:9] sc0 sc1
.LBB8_423:                              ;   in Loop: Header=BB8_77 Depth=1
	s_or_b64 exec, exec, s[40:41]
	v_mov_b32_e32 v2, v84
.LBB8_424:                              ;   in Loop: Header=BB8_77 Depth=1
	s_or_b64 exec, exec, s[92:93]
	s_mov_b64 s[40:41], 0
	s_and_saveexec_b64 s[42:43], s[26:27]
	s_cbranch_execz .LBB8_565
; %bb.425:                              ;   in Loop: Header=BB8_77 Depth=1
	v_sub_u32_e32 v2, v41, v2
	v_min_i32_e32 v10, v84, v2
	v_and_b32_e32 v2, 12, v114
	v_cmp_ne_u32_e32 vcc, 0, v2
	s_and_saveexec_b64 s[44:45], vcc
	s_cbranch_execz .LBB8_435
; %bb.426:                              ;   in Loop: Header=BB8_77 Depth=1
	v_and_b32_e32 v2, 8, v114
	s_waitcnt vmcnt(0) lgkmcnt(0)
	v_lshl_add_u64 v[84:85], v[32:33], 0, v[2:3]
	v_lshl_add_u64 v[12:13], v[8:9], 0, 1
	v_cmp_lt_u64_e32 vcc, v[84:85], v[12:13]
	s_and_saveexec_b64 s[92:93], vcc
	s_cbranch_execz .LBB8_443
; %bb.427:                              ;   in Loop: Header=BB8_77 Depth=1
	v_and_b32_e32 v9, 64, v114
	s_mov_b32 s64, 0
	v_cmp_eq_u32_e32 vcc, 0, v9
	s_mov_b64 s[94:95], 0
                                        ; implicit-def: $sgpr30_sgpr31
                                        ; implicit-def: $sgpr34_sgpr35
                                        ; implicit-def: $sgpr36_sgpr37
	s_branch .LBB8_431
.LBB8_428:                              ;   in Loop: Header=BB8_431 Depth=2
	s_waitcnt vmcnt(0) lgkmcnt(0)
	v_lshl_add_u64 v[84:85], v[32:33], 0, v[2:3]
	v_cmp_ge_u64_e64 s[40:41], v[84:85], v[12:13]
	s_or_b64 s[50:51], s[50:51], exec
	s_orn2_b64 s[48:49], s[40:41], exec
.LBB8_429:                              ;   in Loop: Header=BB8_431 Depth=2
	s_or_b64 exec, exec, s[54:55]
	s_andn2_b64 s[40:41], s[36:37], exec
	s_and_b64 s[36:37], s[50:51], exec
	s_or_b64 s[36:37], s[40:41], s[36:37]
	s_andn2_b64 s[40:41], s[34:35], exec
	s_and_b64 s[34:35], s[48:49], exec
	s_or_b64 s[34:35], s[40:41], s[34:35]
.LBB8_430:                              ;   in Loop: Header=BB8_431 Depth=2
	s_or_b64 exec, exec, s[38:39]
	s_and_b64 s[40:41], exec, s[34:35]
	s_or_b64 s[94:95], s[40:41], s[94:95]
	s_andn2_b64 s[40:41], s[30:31], exec
	s_and_b64 s[30:31], s[36:37], exec
	s_or_b64 s[30:31], s[40:41], s[30:31]
	s_andn2_b64 exec, exec, s[94:95]
	s_cbranch_execz .LBB8_440
.LBB8_431:                              ;   Parent Loop BB8_77 Depth=1
                                        ; =>  This Inner Loop Header: Depth=2
	s_sleep 1
	s_waitcnt vmcnt(0) lgkmcnt(0)
	flat_load_dwordx2 v[32:33], v[20:21] sc0 sc1
	s_or_b64 s[36:37], s[36:37], exec
	s_or_b64 s[34:35], s[34:35], exec
                                        ; implicit-def: $vgpr9
	s_and_saveexec_b64 s[38:39], vcc
	s_cbranch_execz .LBB8_430
; %bb.432:                              ;   in Loop: Header=BB8_431 Depth=2
	s_cmpk_lt_i32 s64, 0x270f
	s_cselect_b64 s[52:53], -1, 0
	s_cmpk_gt_i32 s64, 0x270e
	s_mov_b64 s[48:49], -1
	s_cbranch_scc0 .LBB8_434
; %bb.433:                              ;   in Loop: Header=BB8_431 Depth=2
	s_trap 2
	ds_read_b64 v[84:85], v0
	s_andn2_b64 s[52:53], s[52:53], exec
	s_mov_b32 s64, 0
	s_mov_b64 s[50:51], 0
	s_waitcnt vmcnt(0) lgkmcnt(0)
	flat_load_dword v9, v[84:85] sc0 sc1
	s_waitcnt vmcnt(0) lgkmcnt(0)
	buffer_inv sc0 sc1
	v_cmp_eq_u32_e64 s[40:41], 0, v9
	s_and_b64 s[40:41], s[40:41], exec
	s_or_b64 s[52:53], s[52:53], s[40:41]
	s_and_saveexec_b64 s[54:55], s[52:53]
	s_cbranch_execz .LBB8_429
	s_branch .LBB8_428
.LBB8_434:                              ;   in Loop: Header=BB8_431 Depth=2
	s_add_i32 s64, s64, 1
	s_mov_b64 s[50:51], -1
                                        ; implicit-def: $vgpr9
	s_and_saveexec_b64 s[54:55], s[52:53]
	s_cbranch_execz .LBB8_429
	s_branch .LBB8_428
.LBB8_435:                              ;   in Loop: Header=BB8_77 Depth=1
	s_or_b64 exec, exec, s[44:45]
	s_and_saveexec_b64 s[40:41], s[10:11]
	s_cbranch_execnz .LBB8_456
.LBB8_436:                              ;   in Loop: Header=BB8_77 Depth=1
	s_or_b64 exec, exec, s[40:41]
                                        ; implicit-def: $vgpr2
	s_and_saveexec_b64 s[40:41], s[24:25]
	s_xor_b64 s[40:41], exec, s[40:41]
	s_cbranch_execz .LBB8_524
.LBB8_437:                              ;   in Loop: Header=BB8_77 Depth=1
	s_trap 2
	ds_read_b32 v11, v0
	v_cmp_lt_i32_e32 vcc, 0, v10
	v_and_b32_e32 v10, 16, v114
	v_and_b32_e32 v2, 16, v114
	s_waitcnt lgkmcnt(0)
	v_readfirstlane_b32 s44, v11
	s_cmp_eq_u32 s44, 0
	s_cselect_b64 s[44:45], -1, 0
	s_and_b64 s[44:45], vcc, s[44:45]
	v_cmp_ne_u32_e32 vcc, 0, v10
	s_and_b64 s[92:93], vcc, s[44:45]
	s_and_saveexec_b64 s[44:45], s[92:93]
	s_cbranch_execz .LBB8_439
; %bb.438:                              ;   in Loop: Header=BB8_77 Depth=1
	v_mov_b32_e32 v2, 1
	buffer_wbl2 sc1
	s_waitcnt vmcnt(0)
	buffer_inv sc1
.LBB8_439:                              ;   in Loop: Header=BB8_77 Depth=1
	s_or_b64 exec, exec, s[44:45]
	s_andn2_saveexec_b64 s[40:41], s[40:41]
	s_cbranch_execz .LBB8_562
	s_branch .LBB8_525
.LBB8_440:                              ;   in Loop: Header=BB8_77 Depth=1
	s_or_b64 exec, exec, s[94:95]
	s_xor_b64 s[40:41], s[30:31], -1
	s_and_saveexec_b64 s[94:95], s[40:41]
	s_xor_b64 s[40:41], exec, s[94:95]
	s_cbranch_execz .LBB8_442
; %bb.441:                              ;   in Loop: Header=BB8_77 Depth=1
	v_or_b32_e32 v114, 64, v114
	s_waitcnt lgkmcnt(0)
	ds_write_b32 v0, v9
	s_trap 2
.LBB8_442:                              ;   in Loop: Header=BB8_77 Depth=1
	s_or_b64 exec, exec, s[40:41]
.LBB8_443:                              ;   in Loop: Header=BB8_77 Depth=1
	s_or_b64 exec, exec, s[92:93]
	v_and_b32_e32 v9, 0x108, v114
	v_cmp_ne_u32_e32 vcc, s69, v9
	;;#ASMSTART
	s_wakeup
	;;#ASMEND
                                        ; implicit-def: $vgpr84_vgpr85
	s_and_saveexec_b64 s[40:41], vcc
	s_xor_b64 s[40:41], exec, s[40:41]
; %bb.444:                              ;   in Loop: Header=BB8_77 Depth=1
	v_and_b32_e32 v84, 7, v8
	v_mov_b32_e32 v85, v3
; %bb.445:                              ;   in Loop: Header=BB8_77 Depth=1
	s_andn2_saveexec_b64 s[40:41], s[40:41]
	s_cbranch_execz .LBB8_447
; %bb.446:                              ;   in Loop: Header=BB8_77 Depth=1
	v_and_b32_e32 v84, 7, v8
	v_mov_b32_e32 v85, v3
	v_mad_u64_u32 v[8:9], s[92:93], v84, 24, v[6:7]
	v_ashrrev_i32_e32 v11, 31, v10
	flat_store_dwordx2 v[8:9], v[10:11] offset:8
.LBB8_447:                              ;   in Loop: Header=BB8_77 Depth=1
	s_or_b64 exec, exec, s[40:41]
	v_and_b32_e32 v8, 0x100, v114
	v_cmp_ne_u32_e32 vcc, 0, v8
	s_mov_b64 s[40:41], -1
                                        ; implicit-def: $vgpr8_vgpr9
	s_and_saveexec_b64 s[92:93], vcc
	s_cbranch_execz .LBB8_451
; %bb.448:                              ;   in Loop: Header=BB8_77 Depth=1
	v_mad_u64_u32 v[86:87], s[40:41], v84, 24, v[6:7]
	v_mov_b32_e32 v8, v87
	v_mad_u64_u32 v[8:9], s[40:41], v85, 24, v[8:9]
	v_mov_b32_e32 v87, v8
	flat_load_dword v8, v[86:87]
	s_waitcnt vmcnt(0) lgkmcnt(0)
	v_cmp_ne_u32_e32 vcc, 1, v8
	v_cmp_eq_u32_e64 s[40:41], 1, v8
                                        ; implicit-def: $vgpr8_vgpr9
	s_and_saveexec_b64 s[94:95], s[40:41]
	s_cbranch_execz .LBB8_450
; %bb.449:                              ;   in Loop: Header=BB8_77 Depth=1
	flat_load_dword v8, v[86:87] offset:4 sc0 sc1
	s_waitcnt vmcnt(0) lgkmcnt(0)
	v_ashrrev_i32_e32 v9, 31, v8
.LBB8_450:                              ;   in Loop: Header=BB8_77 Depth=1
	s_or_b64 exec, exec, s[94:95]
	s_orn2_b64 s[40:41], vcc, exec
.LBB8_451:                              ;   in Loop: Header=BB8_77 Depth=1
	s_or_b64 exec, exec, s[92:93]
	s_and_saveexec_b64 s[92:93], s[40:41]
; %bb.452:                              ;   in Loop: Header=BB8_77 Depth=1
	v_mul_lo_u32 v11, v85, v22
	v_mul_lo_u32 v85, v84, v1
	v_mad_u64_u32 v[8:9], s[40:41], v84, v22, 0
	v_add3_u32 v9, v9, v85, v11
; %bb.453:                              ;   in Loop: Header=BB8_77 Depth=1
	s_or_b64 exec, exec, s[92:93]
	v_cmp_eq_u32_e32 vcc, 0, v2
	v_lshl_add_u64 v[8:9], v[24:25], 0, v[8:9]
	s_nop 0
	v_cndmask_b32_e32 v2, v117, v118, vcc
	v_add_u32_e32 v2, v0, v2
	ds_write_b64 v2, v[8:9] offset:584
	v_and_b32_e32 v2, 0x2000, v114
	v_cmp_ne_u32_e32 vcc, 0, v2
	s_and_saveexec_b64 s[40:41], vcc
	s_cbranch_execz .LBB8_455
; %bb.454:                              ;   in Loop: Header=BB8_77 Depth=1
	ds_read_b64 v[8:9], v0 offset:872
	s_waitcnt lgkmcnt(0)
	v_lshl_add_u64 v[8:9], v[8:9], 0, 1
	ds_write_b64 v0, v[8:9] offset:872
.LBB8_455:                              ;   in Loop: Header=BB8_77 Depth=1
	s_or_b64 exec, exec, s[40:41]
	v_mov_b64_e32 v[8:9], v[12:13]
	s_or_b64 exec, exec, s[44:45]
	s_and_saveexec_b64 s[40:41], s[10:11]
	s_cbranch_execz .LBB8_436
.LBB8_456:                              ;   in Loop: Header=BB8_77 Depth=1
	s_and_saveexec_b64 s[44:45], s[60:61]
	s_xor_b64 s[44:45], exec, s[44:45]
	s_cbranch_execz .LBB8_521
; %bb.457:                              ;   in Loop: Header=BB8_77 Depth=1
	s_and_saveexec_b64 s[92:93], s[16:17]
	s_cbranch_execz .LBB8_520
; %bb.458:                              ;   in Loop: Header=BB8_77 Depth=1
	s_mov_b64 s[30:31], exec
	v_mbcnt_lo_u32_b32 v2, s30, 0
	v_mbcnt_hi_u32_b32 v2, s31, v2
	v_cmp_eq_u32_e32 vcc, 0, v2
	s_waitcnt lgkmcnt(0)
	s_and_saveexec_b64 s[94:95], vcc
	s_cbranch_execz .LBB8_460
; %bb.459:                              ;   in Loop: Header=BB8_77 Depth=1
	s_bcnt1_i32_b64 vcc_lo, s[30:31]
	v_mov_b32_e32 v2, vcc_lo
	ds_add_u64 v0, v[2:3]
	s_trap 2
.LBB8_460:                              ;   in Loop: Header=BB8_77 Depth=1
	s_or_b64 exec, exec, s[94:95]
	s_trap 2
	ds_read_b64 v[12:13], v0
	s_waitcnt lgkmcnt(0)
	v_lshl_add_u64 v[26:27], v[26:27], 0, v[34:35]
	v_cmp_lt_u64_e32 vcc, v[12:13], v[26:27]
	s_and_saveexec_b64 s[94:95], vcc
	s_cbranch_execz .LBB8_519
; %bb.461:                              ;   in Loop: Header=BB8_77 Depth=1
	s_mov_b32 s50, 0
	s_mov_b64 s[30:31], 0
                                        ; implicit-def: $sgpr34_sgpr35
                                        ; implicit-def: $sgpr36_sgpr37
	s_branch .LBB8_463
.LBB8_462:                              ;   in Loop: Header=BB8_463 Depth=2
	s_or_b64 exec, exec, s[48:49]
	s_and_b64 vcc, exec, vcc
	s_or_b64 s[30:31], vcc, s[30:31]
	s_andn2_b64 vcc, s[34:35], exec
	s_and_b64 s[34:35], s[36:37], exec
	s_or_b64 s[34:35], vcc, s[34:35]
	s_andn2_b64 exec, exec, s[30:31]
	s_cbranch_execz .LBB8_517
.LBB8_463:                              ;   Parent Loop BB8_77 Depth=1
                                        ; =>  This Inner Loop Header: Depth=2
	s_add_i32 s50, s50, 1
	s_cmpk_lg_i32 s50, 0x2710
	s_cselect_b64 s[38:39], -1, 0
	s_and_b64 vcc, exec, s[38:39]
	s_cbranch_vccz .LBB8_465
; %bb.464:                              ;   in Loop: Header=BB8_463 Depth=2
	s_mov_b64 vcc, -1
	s_or_b64 s[36:37], s[36:37], exec
	s_and_saveexec_b64 s[48:49], s[38:39]
	s_cbranch_execz .LBB8_462
	s_branch .LBB8_466
.LBB8_465:                              ;   in Loop: Header=BB8_463 Depth=2
	s_trap 2
	ds_read_b64 v[12:13], v0
	s_andn2_b64 s[38:39], s[38:39], exec
	s_mov_b32 s50, 0
	s_waitcnt vmcnt(0) lgkmcnt(0)
	flat_load_dword v2, v[12:13] sc0 sc1
	s_waitcnt vmcnt(0) lgkmcnt(0)
	buffer_inv sc0 sc1
	v_cmp_eq_u32_e32 vcc, 0, v2
	s_and_b64 vcc, vcc, exec
	s_or_b64 s[38:39], s[38:39], vcc
	s_mov_b64 vcc, -1
	s_or_b64 s[36:37], s[36:37], exec
	s_and_saveexec_b64 s[48:49], s[38:39]
	s_cbranch_execz .LBB8_462
.LBB8_466:                              ;   in Loop: Header=BB8_463 Depth=2
	s_sleep 1
	s_trap 2
	ds_read_b64 v[12:13], v0
	s_waitcnt lgkmcnt(0)
	s_andn2_b64 s[36:37], s[36:37], exec
	v_cmp_ge_u64_e32 vcc, v[12:13], v[26:27]
	s_orn2_b64 vcc, vcc, exec
	s_branch .LBB8_462
.LBB8_467:                              ;   in Loop: Header=BB8_77 Depth=1
	s_or_b64 exec, exec, s[34:35]
	s_and_saveexec_b64 vcc, s[36:37]
	s_xor_b64 vcc, exec, vcc
	s_cbranch_execz .LBB8_469
; %bb.468:                              ;   in Loop: Header=BB8_77 Depth=1
	ds_write_b32 v0, v116
	s_trap 2
.LBB8_469:                              ;   in Loop: Header=BB8_77 Depth=1
	s_or_b64 exec, exec, s[30:31]
	;;#ASMSTART
	s_wakeup
	;;#ASMEND
.LBB8_470:                              ;   in Loop: Header=BB8_77 Depth=1
	s_or_b64 exec, exec, s[44:45]
.LBB8_471:                              ;   in Loop: Header=BB8_77 Depth=1
	s_andn2_saveexec_b64 s[42:43], s[42:43]
	s_cbranch_execz .LBB8_473
; %bb.472:                              ;   in Loop: Header=BB8_77 Depth=1
	;;#ASMSTART
	s_waitcnt lgkmcnt(0) vmcnt(0)
	;;#ASMEND
	s_barrier
.LBB8_473:                              ;   in Loop: Header=BB8_77 Depth=1
	s_or_b64 exec, exec, s[42:43]
	v_and_b32_e32 v2, 16, v114
	s_or_b64 exec, exec, s[40:41]
	v_cmp_ne_u32_e32 vcc, 0, v2
	s_and_saveexec_b64 s[40:41], vcc
	s_cbranch_execz .LBB8_477
.LBB8_474:                              ;   in Loop: Header=BB8_77 Depth=1
	s_and_saveexec_b64 s[42:43], s[14:15]
	s_cbranch_execz .LBB8_476
; %bb.475:                              ;   in Loop: Header=BB8_77 Depth=1
	flat_store_dword v[28:29], v116 sc0 sc1
.LBB8_476:                              ;   in Loop: Header=BB8_77 Depth=1
	s_or_b64 exec, exec, s[42:43]
	v_lshl_add_u64 v[8:9], v[8:9], 0, 1
	flat_store_dwordx2 v[20:21], v[8:9] sc0 sc1
.LBB8_477:                              ;   in Loop: Header=BB8_77 Depth=1
	s_or_b64 exec, exec, s[40:41]
	v_mov_b32_e32 v2, v84
.LBB8_478:                              ;   in Loop: Header=BB8_77 Depth=1
	s_or_b64 exec, exec, s[94:95]
	s_mov_b64 s[44:45], 0
	s_mov_b64 s[40:41], s[88:89]
	s_and_saveexec_b64 s[42:43], s[26:27]
	s_cbranch_execz .LBB8_614
; %bb.479:                              ;   in Loop: Header=BB8_77 Depth=1
	v_sub_u32_e32 v2, v41, v2
	v_min_i32_e32 v10, v84, v2
	v_and_b32_e32 v2, 8, v114
	v_cmp_ne_u32_e32 vcc, 0, v2
	s_and_saveexec_b64 s[44:45], vcc
	s_cbranch_execz .LBB8_489
; %bb.480:                              ;   in Loop: Header=BB8_77 Depth=1
	s_waitcnt vmcnt(0) lgkmcnt(0)
	v_lshl_add_u64 v[84:85], v[32:33], 0, 8
	v_lshl_add_u64 v[12:13], v[8:9], 0, 1
	v_cmp_lt_u64_e32 vcc, v[84:85], v[12:13]
	s_and_saveexec_b64 s[94:95], vcc
	s_cbranch_execz .LBB8_497
; %bb.481:                              ;   in Loop: Header=BB8_77 Depth=1
	v_and_b32_e32 v2, 64, v114
	s_mov_b32 s66, 0
	v_cmp_eq_u32_e32 vcc, 0, v2
	s_mov_b64 s[30:31], 0
                                        ; implicit-def: $sgpr34_sgpr35
                                        ; implicit-def: $sgpr36_sgpr37
                                        ; implicit-def: $sgpr38_sgpr39
	s_branch .LBB8_485
.LBB8_482:                              ;   in Loop: Header=BB8_485 Depth=2
	s_waitcnt vmcnt(0) lgkmcnt(0)
	v_lshl_add_u64 v[84:85], v[32:33], 0, 8
	v_cmp_ge_u64_e64 s[40:41], v[84:85], v[12:13]
	s_or_b64 s[52:53], s[52:53], exec
	s_orn2_b64 s[50:51], s[40:41], exec
.LBB8_483:                              ;   in Loop: Header=BB8_485 Depth=2
	s_or_b64 exec, exec, s[64:65]
	s_andn2_b64 s[40:41], s[38:39], exec
	s_and_b64 s[38:39], s[52:53], exec
	s_or_b64 s[38:39], s[40:41], s[38:39]
	s_andn2_b64 s[40:41], s[36:37], exec
	s_and_b64 s[36:37], s[50:51], exec
	s_or_b64 s[36:37], s[40:41], s[36:37]
.LBB8_484:                              ;   in Loop: Header=BB8_485 Depth=2
	s_or_b64 exec, exec, s[48:49]
	s_and_b64 s[40:41], exec, s[36:37]
	s_or_b64 s[30:31], s[40:41], s[30:31]
	s_andn2_b64 s[40:41], s[34:35], exec
	s_and_b64 s[34:35], s[38:39], exec
	s_or_b64 s[34:35], s[40:41], s[34:35]
	s_andn2_b64 exec, exec, s[30:31]
	s_cbranch_execz .LBB8_494
.LBB8_485:                              ;   Parent Loop BB8_77 Depth=1
                                        ; =>  This Inner Loop Header: Depth=2
	s_sleep 1
	s_waitcnt vmcnt(0) lgkmcnt(0)
	flat_load_dwordx2 v[32:33], v[20:21] sc0 sc1
	s_or_b64 s[38:39], s[38:39], exec
	s_or_b64 s[36:37], s[36:37], exec
                                        ; implicit-def: $vgpr2
	s_and_saveexec_b64 s[48:49], vcc
	s_cbranch_execz .LBB8_484
; %bb.486:                              ;   in Loop: Header=BB8_485 Depth=2
	s_cmpk_lt_i32 s66, 0x270f
	s_cselect_b64 s[54:55], -1, 0
	s_cmpk_gt_i32 s66, 0x270e
	s_mov_b64 s[50:51], -1
	s_cbranch_scc0 .LBB8_488
; %bb.487:                              ;   in Loop: Header=BB8_485 Depth=2
	s_trap 2
	ds_read_b64 v[84:85], v0
	s_andn2_b64 s[54:55], s[54:55], exec
	s_mov_b32 s66, 0
	s_mov_b64 s[52:53], 0
	s_waitcnt vmcnt(0) lgkmcnt(0)
	flat_load_dword v2, v[84:85] sc0 sc1
	s_waitcnt vmcnt(0) lgkmcnt(0)
	buffer_inv sc0 sc1
	v_cmp_eq_u32_e64 s[40:41], 0, v2
	s_and_b64 s[40:41], s[40:41], exec
	s_or_b64 s[54:55], s[54:55], s[40:41]
	s_and_saveexec_b64 s[64:65], s[54:55]
	s_cbranch_execz .LBB8_483
	s_branch .LBB8_482
.LBB8_488:                              ;   in Loop: Header=BB8_485 Depth=2
	s_add_i32 s66, s66, 1
	s_mov_b64 s[52:53], -1
                                        ; implicit-def: $vgpr2
	s_and_saveexec_b64 s[64:65], s[54:55]
	s_cbranch_execz .LBB8_483
	s_branch .LBB8_482
.LBB8_489:                              ;   in Loop: Header=BB8_77 Depth=1
	s_or_b64 exec, exec, s[44:45]
	s_and_saveexec_b64 s[40:41], s[10:11]
	s_cbranch_execnz .LBB8_506
.LBB8_490:                              ;   in Loop: Header=BB8_77 Depth=1
	s_or_b64 exec, exec, s[40:41]
                                        ; implicit-def: $vgpr2
	s_and_saveexec_b64 s[40:41], s[24:25]
	s_xor_b64 s[40:41], exec, s[40:41]
	s_cbranch_execz .LBB8_543
.LBB8_491:                              ;   in Loop: Header=BB8_77 Depth=1
	s_trap 2
	ds_read_b32 v11, v0
	v_cmp_lt_i32_e32 vcc, 0, v10
	v_and_b32_e32 v10, 16, v114
	v_and_b32_e32 v2, 16, v114
	s_waitcnt lgkmcnt(0)
	v_readfirstlane_b32 s44, v11
	s_cmp_eq_u32 s44, 0
	s_cselect_b64 s[44:45], -1, 0
	s_and_b64 s[44:45], vcc, s[44:45]
	v_cmp_ne_u32_e32 vcc, 0, v10
	s_and_b64 s[94:95], vcc, s[44:45]
	s_and_saveexec_b64 s[44:45], s[94:95]
	s_cbranch_execz .LBB8_493
; %bb.492:                              ;   in Loop: Header=BB8_77 Depth=1
	v_mov_b32_e32 v2, 1
	buffer_wbl2 sc1
	s_waitcnt vmcnt(0)
	buffer_inv sc1
.LBB8_493:                              ;   in Loop: Header=BB8_77 Depth=1
	s_or_b64 exec, exec, s[44:45]
	s_andn2_saveexec_b64 s[40:41], s[40:41]
	s_cbranch_execz .LBB8_611
	s_branch .LBB8_544
.LBB8_494:                              ;   in Loop: Header=BB8_77 Depth=1
	s_or_b64 exec, exec, s[30:31]
	s_xor_b64 s[40:41], s[34:35], -1
	s_and_saveexec_b64 vcc, s[40:41]
	s_xor_b64 s[40:41], exec, vcc
	s_cbranch_execz .LBB8_496
; %bb.495:                              ;   in Loop: Header=BB8_77 Depth=1
	v_or_b32_e32 v114, 64, v114
	s_waitcnt lgkmcnt(0)
	ds_write_b32 v0, v2
	s_trap 2
.LBB8_496:                              ;   in Loop: Header=BB8_77 Depth=1
	s_or_b64 exec, exec, s[40:41]
.LBB8_497:                              ;   in Loop: Header=BB8_77 Depth=1
	s_or_b64 exec, exec, s[94:95]
	v_and_b32_e32 v2, 0x100, v114
	v_cmp_ne_u32_e32 vcc, 0, v2
	v_and_b32_e32 v2, 7, v8
	s_mov_b64 s[40:41], -1
	;;#ASMSTART
	s_wakeup
	;;#ASMEND
                                        ; implicit-def: $vgpr8_vgpr9
	s_and_saveexec_b64 s[94:95], vcc
	s_cbranch_execz .LBB8_501
; %bb.498:                              ;   in Loop: Header=BB8_77 Depth=1
	v_mad_u64_u32 v[84:85], s[40:41], v2, 24, v[6:7]
	flat_load_dword v8, v[84:85]
	v_ashrrev_i32_e32 v11, 31, v10
	flat_store_dwordx2 v[84:85], v[10:11] offset:8
	s_waitcnt vmcnt(0) lgkmcnt(0)
	v_cmp_ne_u32_e32 vcc, 1, v8
	v_cmp_eq_u32_e64 s[40:41], 1, v8
                                        ; implicit-def: $vgpr8_vgpr9
	s_and_saveexec_b64 s[30:31], s[40:41]
	s_cbranch_execz .LBB8_500
; %bb.499:                              ;   in Loop: Header=BB8_77 Depth=1
	flat_load_dword v8, v[84:85] offset:4 sc0 sc1
	s_waitcnt vmcnt(0) lgkmcnt(0)
	v_ashrrev_i32_e32 v9, 31, v8
.LBB8_500:                              ;   in Loop: Header=BB8_77 Depth=1
	s_or_b64 exec, exec, s[30:31]
	s_orn2_b64 s[40:41], vcc, exec
.LBB8_501:                              ;   in Loop: Header=BB8_77 Depth=1
	s_or_b64 exec, exec, s[94:95]
	s_and_saveexec_b64 s[94:95], s[40:41]
; %bb.502:                              ;   in Loop: Header=BB8_77 Depth=1
	v_mad_i64_i32 v[8:9], s[40:41], v2, v22, 0
; %bb.503:                              ;   in Loop: Header=BB8_77 Depth=1
	s_or_b64 exec, exec, s[94:95]
	v_and_b32_e32 v2, 0x2000, v114
	v_lshl_add_u64 v[8:9], v[24:25], 0, v[8:9]
	v_cmp_ne_u32_e32 vcc, 0, v2
	ds_write_b64 v0, v[8:9] offset:792
	s_and_saveexec_b64 s[40:41], vcc
	s_cbranch_execz .LBB8_505
; %bb.504:                              ;   in Loop: Header=BB8_77 Depth=1
	ds_read_b64 v[8:9], v0 offset:872
	s_waitcnt lgkmcnt(0)
	v_lshl_add_u64 v[8:9], v[8:9], 0, 1
	ds_write_b64 v0, v[8:9] offset:872
.LBB8_505:                              ;   in Loop: Header=BB8_77 Depth=1
	s_or_b64 exec, exec, s[40:41]
	v_mov_b64_e32 v[8:9], v[12:13]
	s_or_b64 exec, exec, s[44:45]
	s_and_saveexec_b64 s[40:41], s[10:11]
	s_cbranch_execz .LBB8_490
.LBB8_506:                              ;   in Loop: Header=BB8_77 Depth=1
	s_and_saveexec_b64 s[44:45], s[60:61]
	s_xor_b64 s[44:45], exec, s[44:45]
	s_cbranch_execz .LBB8_540
; %bb.507:                              ;   in Loop: Header=BB8_77 Depth=1
	s_and_saveexec_b64 s[94:95], s[16:17]
	s_cbranch_execz .LBB8_539
; %bb.508:                              ;   in Loop: Header=BB8_77 Depth=1
	s_mov_b64 s[34:35], exec
	v_mbcnt_lo_u32_b32 v2, s34, 0
	v_mbcnt_hi_u32_b32 v2, s35, v2
	v_cmp_eq_u32_e32 vcc, 0, v2
	s_waitcnt lgkmcnt(0)
	s_and_saveexec_b64 s[30:31], vcc
	s_cbranch_execz .LBB8_510
; %bb.509:                              ;   in Loop: Header=BB8_77 Depth=1
	s_bcnt1_i32_b64 vcc_lo, s[34:35]
	v_mov_b32_e32 v2, vcc_lo
	ds_add_u64 v0, v[2:3]
	s_trap 2
.LBB8_510:                              ;   in Loop: Header=BB8_77 Depth=1
	s_or_b64 exec, exec, s[30:31]
	s_trap 2
	ds_read_b64 v[12:13], v0
	s_waitcnt lgkmcnt(0)
	v_lshl_add_u64 v[26:27], v[26:27], 0, v[34:35]
	v_cmp_lt_u64_e32 vcc, v[12:13], v[26:27]
	s_and_saveexec_b64 s[30:31], vcc
	s_cbranch_execz .LBB8_538
; %bb.511:                              ;   in Loop: Header=BB8_77 Depth=1
	s_mov_b32 s52, 0
	s_mov_b64 s[34:35], 0
                                        ; implicit-def: $sgpr36_sgpr37
                                        ; implicit-def: $sgpr38_sgpr39
	s_branch .LBB8_513
.LBB8_512:                              ;   in Loop: Header=BB8_513 Depth=2
	s_or_b64 exec, exec, s[50:51]
	s_and_b64 vcc, exec, vcc
	s_or_b64 s[34:35], vcc, s[34:35]
	s_andn2_b64 vcc, s[36:37], exec
	s_and_b64 s[36:37], s[38:39], exec
	s_or_b64 s[36:37], vcc, s[36:37]
	s_andn2_b64 exec, exec, s[34:35]
	s_cbranch_execz .LBB8_536
.LBB8_513:                              ;   Parent Loop BB8_77 Depth=1
                                        ; =>  This Inner Loop Header: Depth=2
	s_add_i32 s52, s52, 1
	s_cmpk_lg_i32 s52, 0x2710
	s_cselect_b64 s[48:49], -1, 0
	s_and_b64 vcc, exec, s[48:49]
	s_cbranch_vccz .LBB8_515
; %bb.514:                              ;   in Loop: Header=BB8_513 Depth=2
	s_mov_b64 vcc, -1
	s_or_b64 s[38:39], s[38:39], exec
	s_and_saveexec_b64 s[50:51], s[48:49]
	s_cbranch_execz .LBB8_512
	s_branch .LBB8_516
.LBB8_515:                              ;   in Loop: Header=BB8_513 Depth=2
	s_trap 2
	ds_read_b64 v[12:13], v0
	s_andn2_b64 s[48:49], s[48:49], exec
	s_mov_b32 s52, 0
	s_waitcnt vmcnt(0) lgkmcnt(0)
	flat_load_dword v2, v[12:13] sc0 sc1
	s_waitcnt vmcnt(0) lgkmcnt(0)
	buffer_inv sc0 sc1
	v_cmp_eq_u32_e32 vcc, 0, v2
	s_and_b64 vcc, vcc, exec
	s_or_b64 s[48:49], s[48:49], vcc
	s_mov_b64 vcc, -1
	s_or_b64 s[38:39], s[38:39], exec
	s_and_saveexec_b64 s[50:51], s[48:49]
	s_cbranch_execz .LBB8_512
.LBB8_516:                              ;   in Loop: Header=BB8_513 Depth=2
	s_sleep 1
	s_trap 2
	ds_read_b64 v[12:13], v0
	s_waitcnt lgkmcnt(0)
	s_andn2_b64 s[38:39], s[38:39], exec
	v_cmp_ge_u64_e32 vcc, v[12:13], v[26:27]
	s_orn2_b64 vcc, vcc, exec
	s_branch .LBB8_512
.LBB8_517:                              ;   in Loop: Header=BB8_77 Depth=1
	s_or_b64 exec, exec, s[30:31]
	s_and_saveexec_b64 vcc, s[34:35]
	s_xor_b64 vcc, exec, vcc
	s_cbranch_execz .LBB8_519
; %bb.518:                              ;   in Loop: Header=BB8_77 Depth=1
	ds_write_b32 v0, v116
	s_trap 2
.LBB8_519:                              ;   in Loop: Header=BB8_77 Depth=1
	s_or_b64 exec, exec, s[94:95]
	;;#ASMSTART
	s_wakeup
	;;#ASMEND
.LBB8_520:                              ;   in Loop: Header=BB8_77 Depth=1
	s_or_b64 exec, exec, s[92:93]
.LBB8_521:                              ;   in Loop: Header=BB8_77 Depth=1
	s_andn2_saveexec_b64 s[44:45], s[44:45]
	s_cbranch_execz .LBB8_523
; %bb.522:                              ;   in Loop: Header=BB8_77 Depth=1
	s_waitcnt lgkmcnt(0)
	s_barrier
.LBB8_523:                              ;   in Loop: Header=BB8_77 Depth=1
	s_or_b64 exec, exec, s[44:45]
	s_or_b64 exec, exec, s[40:41]
                                        ; implicit-def: $vgpr2
	s_and_saveexec_b64 s[40:41], s[24:25]
	s_xor_b64 s[40:41], exec, s[40:41]
	s_cbranch_execnz .LBB8_437
.LBB8_524:                              ;   in Loop: Header=BB8_77 Depth=1
	s_andn2_saveexec_b64 s[40:41], s[40:41]
	s_cbranch_execz .LBB8_562
.LBB8_525:                              ;   in Loop: Header=BB8_77 Depth=1
	s_and_saveexec_b64 s[44:45], s[60:61]
	s_xor_b64 s[44:45], exec, s[44:45]
	s_cbranch_execz .LBB8_559
; %bb.526:                              ;   in Loop: Header=BB8_77 Depth=1
	s_and_saveexec_b64 s[92:93], s[16:17]
	s_cbranch_execz .LBB8_558
; %bb.527:                              ;   in Loop: Header=BB8_77 Depth=1
	s_mov_b64 s[30:31], exec
	v_mbcnt_lo_u32_b32 v2, s30, 0
	v_mbcnt_hi_u32_b32 v2, s31, v2
	v_cmp_eq_u32_e32 vcc, 0, v2
	;;#ASMSTART
	s_waitcnt lgkmcnt(0) vmcnt(0)
	;;#ASMEND
	s_and_saveexec_b64 s[94:95], vcc
	s_cbranch_execz .LBB8_529
; %bb.528:                              ;   in Loop: Header=BB8_77 Depth=1
	s_bcnt1_i32_b64 vcc_lo, s[30:31]
	v_mov_b32_e32 v2, vcc_lo
	s_waitcnt lgkmcnt(0)
	ds_add_u64 v0, v[2:3]
	s_trap 2
.LBB8_529:                              ;   in Loop: Header=BB8_77 Depth=1
	s_or_b64 exec, exec, s[94:95]
	s_trap 2
	ds_read_b64 v[10:11], v0
	s_waitcnt lgkmcnt(0)
	v_lshl_add_u64 v[26:27], v[26:27], 0, v[34:35]
	v_cmp_lt_u64_e32 vcc, v[10:11], v[26:27]
	s_and_saveexec_b64 s[94:95], vcc
	s_cbranch_execz .LBB8_557
; %bb.530:                              ;   in Loop: Header=BB8_77 Depth=1
	s_mov_b32 s50, 0
	s_mov_b64 s[30:31], 0
                                        ; implicit-def: $sgpr34_sgpr35
                                        ; implicit-def: $sgpr36_sgpr37
	s_branch .LBB8_532
.LBB8_531:                              ;   in Loop: Header=BB8_532 Depth=2
	s_or_b64 exec, exec, s[48:49]
	s_and_b64 vcc, exec, vcc
	s_or_b64 s[30:31], vcc, s[30:31]
	s_andn2_b64 vcc, s[34:35], exec
	s_and_b64 s[34:35], s[36:37], exec
	s_or_b64 s[34:35], vcc, s[34:35]
	s_andn2_b64 exec, exec, s[30:31]
	s_cbranch_execz .LBB8_555
.LBB8_532:                              ;   Parent Loop BB8_77 Depth=1
                                        ; =>  This Inner Loop Header: Depth=2
	s_add_i32 s50, s50, 1
	s_cmpk_lg_i32 s50, 0x2710
	s_cselect_b64 s[38:39], -1, 0
	s_and_b64 vcc, exec, s[38:39]
	s_cbranch_vccz .LBB8_534
; %bb.533:                              ;   in Loop: Header=BB8_532 Depth=2
	s_mov_b64 vcc, -1
	s_or_b64 s[36:37], s[36:37], exec
	s_and_saveexec_b64 s[48:49], s[38:39]
	s_cbranch_execz .LBB8_531
	s_branch .LBB8_535
.LBB8_534:                              ;   in Loop: Header=BB8_532 Depth=2
	s_trap 2
	ds_read_b64 v[10:11], v0
	s_andn2_b64 s[38:39], s[38:39], exec
	s_mov_b32 s50, 0
	s_waitcnt vmcnt(0) lgkmcnt(0)
	flat_load_dword v2, v[10:11] sc0 sc1
	s_waitcnt vmcnt(0) lgkmcnt(0)
	buffer_inv sc0 sc1
	v_cmp_eq_u32_e32 vcc, 0, v2
	s_and_b64 vcc, vcc, exec
	s_or_b64 s[38:39], s[38:39], vcc
	s_mov_b64 vcc, -1
	s_or_b64 s[36:37], s[36:37], exec
	s_and_saveexec_b64 s[48:49], s[38:39]
	s_cbranch_execz .LBB8_531
.LBB8_535:                              ;   in Loop: Header=BB8_532 Depth=2
	s_sleep 1
	s_trap 2
	ds_read_b64 v[10:11], v0
	s_waitcnt lgkmcnt(0)
	s_andn2_b64 s[36:37], s[36:37], exec
	v_cmp_ge_u64_e32 vcc, v[10:11], v[26:27]
	s_orn2_b64 vcc, vcc, exec
	s_branch .LBB8_531
.LBB8_536:                              ;   in Loop: Header=BB8_77 Depth=1
	s_or_b64 exec, exec, s[34:35]
	s_and_saveexec_b64 vcc, s[36:37]
	s_xor_b64 vcc, exec, vcc
	s_cbranch_execz .LBB8_538
; %bb.537:                              ;   in Loop: Header=BB8_77 Depth=1
	ds_write_b32 v0, v116
	s_trap 2
.LBB8_538:                              ;   in Loop: Header=BB8_77 Depth=1
	s_or_b64 exec, exec, s[30:31]
	;;#ASMSTART
	s_wakeup
	;;#ASMEND
.LBB8_539:                              ;   in Loop: Header=BB8_77 Depth=1
	s_or_b64 exec, exec, s[94:95]
.LBB8_540:                              ;   in Loop: Header=BB8_77 Depth=1
	s_andn2_saveexec_b64 s[44:45], s[44:45]
	s_cbranch_execz .LBB8_542
; %bb.541:                              ;   in Loop: Header=BB8_77 Depth=1
	s_waitcnt lgkmcnt(0)
	s_barrier
.LBB8_542:                              ;   in Loop: Header=BB8_77 Depth=1
	s_or_b64 exec, exec, s[44:45]
	s_or_b64 exec, exec, s[40:41]
                                        ; implicit-def: $vgpr2
	s_and_saveexec_b64 s[40:41], s[24:25]
	s_xor_b64 s[40:41], exec, s[40:41]
	s_cbranch_execnz .LBB8_491
.LBB8_543:                              ;   in Loop: Header=BB8_77 Depth=1
	s_andn2_saveexec_b64 s[40:41], s[40:41]
	s_cbranch_execz .LBB8_611
.LBB8_544:                              ;   in Loop: Header=BB8_77 Depth=1
	s_and_saveexec_b64 s[44:45], s[60:61]
	s_xor_b64 s[44:45], exec, s[44:45]
	s_cbranch_execz .LBB8_608
; %bb.545:                              ;   in Loop: Header=BB8_77 Depth=1
	s_and_saveexec_b64 s[94:95], s[16:17]
	s_cbranch_execz .LBB8_607
; %bb.546:                              ;   in Loop: Header=BB8_77 Depth=1
	s_mov_b64 s[34:35], exec
	v_mbcnt_lo_u32_b32 v2, s34, 0
	v_mbcnt_hi_u32_b32 v2, s35, v2
	v_cmp_eq_u32_e32 vcc, 0, v2
	;;#ASMSTART
	s_waitcnt lgkmcnt(0) vmcnt(0)
	;;#ASMEND
	s_and_saveexec_b64 s[30:31], vcc
	s_cbranch_execz .LBB8_548
; %bb.547:                              ;   in Loop: Header=BB8_77 Depth=1
	s_bcnt1_i32_b64 vcc_lo, s[34:35]
	v_mov_b32_e32 v2, vcc_lo
	s_waitcnt lgkmcnt(0)
	ds_add_u64 v0, v[2:3]
	s_trap 2
.LBB8_548:                              ;   in Loop: Header=BB8_77 Depth=1
	s_or_b64 exec, exec, s[30:31]
	s_trap 2
	ds_read_b64 v[10:11], v0
	s_waitcnt lgkmcnt(0)
	v_lshl_add_u64 v[26:27], v[26:27], 0, v[34:35]
	v_cmp_lt_u64_e32 vcc, v[10:11], v[26:27]
	s_and_saveexec_b64 s[30:31], vcc
	s_cbranch_execz .LBB8_606
; %bb.549:                              ;   in Loop: Header=BB8_77 Depth=1
	s_mov_b32 s52, 0
	s_mov_b64 s[34:35], 0
                                        ; implicit-def: $sgpr36_sgpr37
                                        ; implicit-def: $sgpr38_sgpr39
	s_branch .LBB8_551
.LBB8_550:                              ;   in Loop: Header=BB8_551 Depth=2
	s_or_b64 exec, exec, s[50:51]
	s_and_b64 vcc, exec, vcc
	s_or_b64 s[34:35], vcc, s[34:35]
	s_andn2_b64 vcc, s[36:37], exec
	s_and_b64 s[36:37], s[38:39], exec
	s_or_b64 s[36:37], vcc, s[36:37]
	s_andn2_b64 exec, exec, s[34:35]
	s_cbranch_execz .LBB8_604
.LBB8_551:                              ;   Parent Loop BB8_77 Depth=1
                                        ; =>  This Inner Loop Header: Depth=2
	s_add_i32 s52, s52, 1
	s_cmpk_lg_i32 s52, 0x2710
	s_cselect_b64 s[48:49], -1, 0
	s_and_b64 vcc, exec, s[48:49]
	s_cbranch_vccz .LBB8_553
; %bb.552:                              ;   in Loop: Header=BB8_551 Depth=2
	s_mov_b64 vcc, -1
	s_or_b64 s[38:39], s[38:39], exec
	s_and_saveexec_b64 s[50:51], s[48:49]
	s_cbranch_execz .LBB8_550
	s_branch .LBB8_554
.LBB8_553:                              ;   in Loop: Header=BB8_551 Depth=2
	s_trap 2
	ds_read_b64 v[10:11], v0
	s_andn2_b64 s[48:49], s[48:49], exec
	s_mov_b32 s52, 0
	s_waitcnt vmcnt(0) lgkmcnt(0)
	flat_load_dword v2, v[10:11] sc0 sc1
	s_waitcnt vmcnt(0) lgkmcnt(0)
	buffer_inv sc0 sc1
	v_cmp_eq_u32_e32 vcc, 0, v2
	s_and_b64 vcc, vcc, exec
	s_or_b64 s[48:49], s[48:49], vcc
	s_mov_b64 vcc, -1
	s_or_b64 s[38:39], s[38:39], exec
	s_and_saveexec_b64 s[50:51], s[48:49]
	s_cbranch_execz .LBB8_550
.LBB8_554:                              ;   in Loop: Header=BB8_551 Depth=2
	s_sleep 1
	s_trap 2
	ds_read_b64 v[10:11], v0
	s_waitcnt lgkmcnt(0)
	s_andn2_b64 s[38:39], s[38:39], exec
	v_cmp_ge_u64_e32 vcc, v[10:11], v[26:27]
	s_orn2_b64 vcc, vcc, exec
	s_branch .LBB8_550
.LBB8_555:                              ;   in Loop: Header=BB8_77 Depth=1
	s_or_b64 exec, exec, s[30:31]
	s_and_saveexec_b64 vcc, s[34:35]
	s_xor_b64 vcc, exec, vcc
	s_cbranch_execz .LBB8_557
; %bb.556:                              ;   in Loop: Header=BB8_77 Depth=1
	ds_write_b32 v0, v116
	s_trap 2
.LBB8_557:                              ;   in Loop: Header=BB8_77 Depth=1
	s_or_b64 exec, exec, s[94:95]
	;;#ASMSTART
	s_wakeup
	;;#ASMEND
.LBB8_558:                              ;   in Loop: Header=BB8_77 Depth=1
	s_or_b64 exec, exec, s[92:93]
.LBB8_559:                              ;   in Loop: Header=BB8_77 Depth=1
	s_andn2_saveexec_b64 s[44:45], s[44:45]
	s_cbranch_execz .LBB8_561
; %bb.560:                              ;   in Loop: Header=BB8_77 Depth=1
	;;#ASMSTART
	s_waitcnt lgkmcnt(0) vmcnt(0)
	;;#ASMEND
	s_barrier
.LBB8_561:                              ;   in Loop: Header=BB8_77 Depth=1
	s_or_b64 exec, exec, s[44:45]
	v_and_b32_e32 v2, 16, v114
.LBB8_562:                              ;   in Loop: Header=BB8_77 Depth=1
	s_or_b64 exec, exec, s[40:41]
	v_cmp_ne_u32_e32 vcc, 0, v2
	s_xor_b64 s[40:41], s[12:13], -1
	s_and_b64 s[44:45], vcc, s[40:41]
	s_and_saveexec_b64 s[40:41], s[44:45]
	s_cbranch_execz .LBB8_564
; %bb.563:                              ;   in Loop: Header=BB8_77 Depth=1
	flat_store_dword v[28:29], v116 sc0 sc1
.LBB8_564:                              ;   in Loop: Header=BB8_77 Depth=1
	s_or_b64 exec, exec, s[40:41]
	v_and_b32_e32 v2, 48, v114
	v_cmp_ne_u32_e32 vcc, 0, v2
	s_and_b64 s[40:41], vcc, exec
.LBB8_565:                              ;   in Loop: Header=BB8_77 Depth=1
	s_or_b64 exec, exec, s[42:43]
	s_and_b64 s[42:43], s[40:41], exec
                                        ; implicit-def: $vgpr84
                                        ; implicit-def: $vgpr41
                                        ; implicit-def: $vgpr10_vgpr11
.LBB8_566:                              ;   in Loop: Header=BB8_77 Depth=1
	s_andn2_saveexec_b64 s[44:45], s[88:89]
	s_cbranch_execz .LBB8_996
; %bb.567:                              ;   in Loop: Header=BB8_77 Depth=1
	v_mov_b32_e32 v85, 0
	s_and_saveexec_b64 s[88:89], s[28:29]
	s_cbranch_execz .LBB8_846
; %bb.568:                              ;   in Loop: Header=BB8_77 Depth=1
	s_and_saveexec_b64 s[40:41], s[0:1]
	s_cbranch_execz .LBB8_570
; %bb.569:                              ;   in Loop: Header=BB8_77 Depth=1
	s_trap 2
	ds_read_b128 v[96:99], v0
	s_waitcnt lgkmcnt(0)
	v_lshl_add_u64 v[12:13], v[96:97], 0, v[10:11]
	v_lshl_add_u64 v[10:11], v[98:99], 0, v[10:11]
	v_cmp_ne_u64_e32 vcc, 0, v[98:99]
	ds_write_b64 v0, v[12:13]
	s_nop 0
	v_cndmask_b32_e32 v11, 0, v11, vcc
	v_cndmask_b32_e32 v10, 0, v10, vcc
	ds_write_b64 v0, v[10:11]
.LBB8_570:                              ;   in Loop: Header=BB8_77 Depth=1
	s_or_b64 exec, exec, s[40:41]
	v_and_b32_e32 v2, 4, v114
	v_cmp_ne_u32_e32 vcc, 0, v2
	s_and_saveexec_b64 s[92:93], vcc
	s_cbranch_execz .LBB8_592
; %bb.571:                              ;   in Loop: Header=BB8_77 Depth=1
	v_lshl_add_u64 v[10:11], v[8:9], 0, 1
	s_waitcnt vmcnt(0) lgkmcnt(0)
	v_cmp_lt_u64_e32 vcc, v[32:33], v[10:11]
	s_and_saveexec_b64 s[94:95], vcc
	s_cbranch_execz .LBB8_583
; %bb.572:                              ;   in Loop: Header=BB8_77 Depth=1
	v_and_b32_e32 v2, 64, v114
	s_mov_b32 s66, 0
	v_cmp_eq_u32_e32 vcc, 0, v2
	s_mov_b64 s[30:31], 0
                                        ; implicit-def: $sgpr34_sgpr35
                                        ; implicit-def: $sgpr36_sgpr37
                                        ; implicit-def: $sgpr38_sgpr39
	s_branch .LBB8_576
.LBB8_573:                              ;   in Loop: Header=BB8_576 Depth=2
	s_waitcnt vmcnt(0) lgkmcnt(0)
	v_cmp_ge_u64_e64 s[40:41], v[32:33], v[10:11]
	s_or_b64 s[52:53], s[52:53], exec
	s_orn2_b64 s[50:51], s[40:41], exec
.LBB8_574:                              ;   in Loop: Header=BB8_576 Depth=2
	s_or_b64 exec, exec, s[64:65]
	s_andn2_b64 s[40:41], s[38:39], exec
	s_and_b64 s[38:39], s[52:53], exec
	s_or_b64 s[38:39], s[40:41], s[38:39]
	s_andn2_b64 s[40:41], s[36:37], exec
	s_and_b64 s[36:37], s[50:51], exec
	s_or_b64 s[36:37], s[40:41], s[36:37]
.LBB8_575:                              ;   in Loop: Header=BB8_576 Depth=2
	s_or_b64 exec, exec, s[48:49]
	s_and_b64 s[40:41], exec, s[36:37]
	s_or_b64 s[30:31], s[40:41], s[30:31]
	s_andn2_b64 s[40:41], s[34:35], exec
	s_and_b64 s[34:35], s[38:39], exec
	s_or_b64 s[34:35], s[40:41], s[34:35]
	s_andn2_b64 exec, exec, s[30:31]
	s_cbranch_execz .LBB8_580
.LBB8_576:                              ;   Parent Loop BB8_77 Depth=1
                                        ; =>  This Inner Loop Header: Depth=2
	s_sleep 1
	s_waitcnt vmcnt(0) lgkmcnt(0)
	flat_load_dwordx2 v[32:33], v[20:21] sc0 sc1
	s_or_b64 s[38:39], s[38:39], exec
	s_or_b64 s[36:37], s[36:37], exec
                                        ; implicit-def: $vgpr2
	s_and_saveexec_b64 s[48:49], vcc
	s_cbranch_execz .LBB8_575
; %bb.577:                              ;   in Loop: Header=BB8_576 Depth=2
	s_cmpk_lt_i32 s66, 0x270f
	s_cselect_b64 s[54:55], -1, 0
	s_cmpk_gt_i32 s66, 0x270e
	s_mov_b64 s[50:51], -1
	s_cbranch_scc0 .LBB8_579
; %bb.578:                              ;   in Loop: Header=BB8_576 Depth=2
	s_trap 2
	ds_read_b64 v[12:13], v0
	s_andn2_b64 s[54:55], s[54:55], exec
	s_mov_b32 s66, 0
	s_mov_b64 s[52:53], 0
	s_waitcnt vmcnt(0) lgkmcnt(0)
	flat_load_dword v2, v[12:13] sc0 sc1
	s_waitcnt vmcnt(0) lgkmcnt(0)
	buffer_inv sc0 sc1
	v_cmp_eq_u32_e64 s[40:41], 0, v2
	s_and_b64 s[40:41], s[40:41], exec
	s_or_b64 s[54:55], s[54:55], s[40:41]
	s_and_saveexec_b64 s[64:65], s[54:55]
	s_cbranch_execz .LBB8_574
	s_branch .LBB8_573
.LBB8_579:                              ;   in Loop: Header=BB8_576 Depth=2
	s_add_i32 s66, s66, 1
	s_mov_b64 s[52:53], -1
                                        ; implicit-def: $vgpr2
	s_and_saveexec_b64 s[64:65], s[54:55]
	s_cbranch_execz .LBB8_574
	s_branch .LBB8_573
.LBB8_580:                              ;   in Loop: Header=BB8_77 Depth=1
	s_or_b64 exec, exec, s[30:31]
	s_xor_b64 s[40:41], s[34:35], -1
	s_and_saveexec_b64 vcc, s[40:41]
	s_xor_b64 s[40:41], exec, vcc
	s_cbranch_execz .LBB8_582
; %bb.581:                              ;   in Loop: Header=BB8_77 Depth=1
	v_or_b32_e32 v114, 64, v114
	s_waitcnt lgkmcnt(0)
	ds_write_b32 v0, v2
	s_trap 2
.LBB8_582:                              ;   in Loop: Header=BB8_77 Depth=1
	s_or_b64 exec, exec, s[40:41]
.LBB8_583:                              ;   in Loop: Header=BB8_77 Depth=1
	s_or_b64 exec, exec, s[94:95]
	v_and_b32_e32 v2, 0x100, v114
	v_cmp_ne_u32_e32 vcc, 0, v2
	v_and_b32_e32 v2, 7, v8
	s_mov_b64 s[40:41], -1
	;;#ASMSTART
	s_wakeup
	;;#ASMEND
                                        ; implicit-def: $vgpr8_vgpr9
	s_and_saveexec_b64 s[94:95], vcc
	s_cbranch_execz .LBB8_587
; %bb.584:                              ;   in Loop: Header=BB8_77 Depth=1
	v_mad_u64_u32 v[12:13], s[40:41], v2, 24, v[6:7]
	flat_load_dword v8, v[12:13]
	s_waitcnt vmcnt(0) lgkmcnt(0)
	v_cmp_ne_u32_e32 vcc, 1, v8
	v_cmp_eq_u32_e64 s[40:41], 1, v8
                                        ; implicit-def: $vgpr8_vgpr9
	s_and_saveexec_b64 s[30:31], s[40:41]
	s_cbranch_execz .LBB8_586
; %bb.585:                              ;   in Loop: Header=BB8_77 Depth=1
	flat_load_dword v8, v[12:13] offset:4 sc0 sc1
	s_waitcnt vmcnt(0) lgkmcnt(0)
	v_ashrrev_i32_e32 v9, 31, v8
.LBB8_586:                              ;   in Loop: Header=BB8_77 Depth=1
	s_or_b64 exec, exec, s[30:31]
	s_orn2_b64 s[40:41], vcc, exec
.LBB8_587:                              ;   in Loop: Header=BB8_77 Depth=1
	s_or_b64 exec, exec, s[94:95]
	s_and_saveexec_b64 s[94:95], s[40:41]
; %bb.588:                              ;   in Loop: Header=BB8_77 Depth=1
	v_mad_i64_i32 v[8:9], s[40:41], v2, v22, 0
; %bb.589:                              ;   in Loop: Header=BB8_77 Depth=1
	s_or_b64 exec, exec, s[94:95]
	v_and_b32_e32 v2, 0x2000, v114
	v_lshl_add_u64 v[8:9], v[24:25], 0, v[8:9]
	v_cmp_ne_u32_e32 vcc, 0, v2
	ds_write_b64 v0, v[8:9] offset:720
	s_and_saveexec_b64 s[40:41], vcc
	s_cbranch_execz .LBB8_591
; %bb.590:                              ;   in Loop: Header=BB8_77 Depth=1
	ds_read_b64 v[8:9], v0 offset:872
	s_waitcnt lgkmcnt(0)
	v_lshl_add_u64 v[8:9], v[8:9], 0, 1
	ds_write_b64 v0, v[8:9] offset:872
.LBB8_591:                              ;   in Loop: Header=BB8_77 Depth=1
	s_or_b64 exec, exec, s[40:41]
	v_mov_b64_e32 v[8:9], v[10:11]
.LBB8_592:                              ;   in Loop: Header=BB8_77 Depth=1
	s_or_b64 exec, exec, s[92:93]
	s_and_saveexec_b64 s[40:41], s[10:11]
	s_cbranch_execz .LBB8_660
; %bb.593:                              ;   in Loop: Header=BB8_77 Depth=1
	s_and_saveexec_b64 s[92:93], s[60:61]
	s_xor_b64 s[92:93], exec, s[92:93]
	s_cbranch_execz .LBB8_657
; %bb.594:                              ;   in Loop: Header=BB8_77 Depth=1
	s_and_saveexec_b64 s[94:95], s[16:17]
	s_cbranch_execz .LBB8_656
; %bb.595:                              ;   in Loop: Header=BB8_77 Depth=1
	s_mov_b64 s[34:35], exec
	v_mbcnt_lo_u32_b32 v2, s34, 0
	v_mbcnt_hi_u32_b32 v2, s35, v2
	v_cmp_eq_u32_e32 vcc, 0, v2
	s_waitcnt lgkmcnt(0)
	s_and_saveexec_b64 s[30:31], vcc
	s_cbranch_execz .LBB8_597
; %bb.596:                              ;   in Loop: Header=BB8_77 Depth=1
	s_bcnt1_i32_b64 vcc_lo, s[34:35]
	v_mov_b32_e32 v2, vcc_lo
	ds_add_u64 v0, v[2:3]
	s_trap 2
.LBB8_597:                              ;   in Loop: Header=BB8_77 Depth=1
	s_or_b64 exec, exec, s[30:31]
	s_trap 2
	ds_read_b64 v[10:11], v0
	s_waitcnt lgkmcnt(0)
	v_lshl_add_u64 v[26:27], v[26:27], 0, v[34:35]
	v_cmp_lt_u64_e32 vcc, v[10:11], v[26:27]
	s_and_saveexec_b64 s[30:31], vcc
	s_cbranch_execz .LBB8_655
; %bb.598:                              ;   in Loop: Header=BB8_77 Depth=1
	s_mov_b32 s52, 0
	s_mov_b64 s[34:35], 0
                                        ; implicit-def: $sgpr36_sgpr37
                                        ; implicit-def: $sgpr38_sgpr39
	s_branch .LBB8_600
.LBB8_599:                              ;   in Loop: Header=BB8_600 Depth=2
	s_or_b64 exec, exec, s[50:51]
	s_and_b64 vcc, exec, vcc
	s_or_b64 s[34:35], vcc, s[34:35]
	s_andn2_b64 vcc, s[36:37], exec
	s_and_b64 s[36:37], s[38:39], exec
	s_or_b64 s[36:37], vcc, s[36:37]
	s_andn2_b64 exec, exec, s[34:35]
	s_cbranch_execz .LBB8_653
.LBB8_600:                              ;   Parent Loop BB8_77 Depth=1
                                        ; =>  This Inner Loop Header: Depth=2
	s_add_i32 s52, s52, 1
	s_cmpk_lg_i32 s52, 0x2710
	s_cselect_b64 s[48:49], -1, 0
	s_and_b64 vcc, exec, s[48:49]
	s_cbranch_vccz .LBB8_602
; %bb.601:                              ;   in Loop: Header=BB8_600 Depth=2
	s_mov_b64 vcc, -1
	s_or_b64 s[38:39], s[38:39], exec
	s_and_saveexec_b64 s[50:51], s[48:49]
	s_cbranch_execz .LBB8_599
	s_branch .LBB8_603
.LBB8_602:                              ;   in Loop: Header=BB8_600 Depth=2
	s_trap 2
	ds_read_b64 v[10:11], v0
	s_andn2_b64 s[48:49], s[48:49], exec
	s_mov_b32 s52, 0
	s_waitcnt vmcnt(0) lgkmcnt(0)
	flat_load_dword v2, v[10:11] sc0 sc1
	s_waitcnt vmcnt(0) lgkmcnt(0)
	buffer_inv sc0 sc1
	v_cmp_eq_u32_e32 vcc, 0, v2
	s_and_b64 vcc, vcc, exec
	s_or_b64 s[48:49], s[48:49], vcc
	s_mov_b64 vcc, -1
	s_or_b64 s[38:39], s[38:39], exec
	s_and_saveexec_b64 s[50:51], s[48:49]
	s_cbranch_execz .LBB8_599
.LBB8_603:                              ;   in Loop: Header=BB8_600 Depth=2
	s_sleep 1
	s_trap 2
	ds_read_b64 v[10:11], v0
	s_waitcnt lgkmcnt(0)
	s_andn2_b64 s[38:39], s[38:39], exec
	v_cmp_ge_u64_e32 vcc, v[10:11], v[26:27]
	s_orn2_b64 vcc, vcc, exec
	s_branch .LBB8_599
.LBB8_604:                              ;   in Loop: Header=BB8_77 Depth=1
	s_or_b64 exec, exec, s[34:35]
	s_and_saveexec_b64 vcc, s[36:37]
	s_xor_b64 vcc, exec, vcc
	s_cbranch_execz .LBB8_606
; %bb.605:                              ;   in Loop: Header=BB8_77 Depth=1
	ds_write_b32 v0, v116
	s_trap 2
.LBB8_606:                              ;   in Loop: Header=BB8_77 Depth=1
	s_or_b64 exec, exec, s[30:31]
	;;#ASMSTART
	s_wakeup
	;;#ASMEND
.LBB8_607:                              ;   in Loop: Header=BB8_77 Depth=1
	s_or_b64 exec, exec, s[94:95]
.LBB8_608:                              ;   in Loop: Header=BB8_77 Depth=1
	s_andn2_saveexec_b64 s[44:45], s[44:45]
	s_cbranch_execz .LBB8_610
; %bb.609:                              ;   in Loop: Header=BB8_77 Depth=1
	;;#ASMSTART
	s_waitcnt lgkmcnt(0) vmcnt(0)
	;;#ASMEND
	s_barrier
.LBB8_610:                              ;   in Loop: Header=BB8_77 Depth=1
	s_or_b64 exec, exec, s[44:45]
	v_and_b32_e32 v2, 16, v114
.LBB8_611:                              ;   in Loop: Header=BB8_77 Depth=1
	s_or_b64 exec, exec, s[40:41]
	v_cmp_ne_u32_e32 vcc, 0, v2
	s_mov_b64 s[44:45], 0
	s_mov_b64 s[40:41], s[88:89]
	s_and_saveexec_b64 s[94:95], vcc
	s_xor_b64 s[94:95], exec, s[94:95]
; %bb.612:                              ;   in Loop: Header=BB8_77 Depth=1
	s_andn2_b64 s[40:41], s[88:89], exec
	s_and_b64 s[44:45], s[12:13], exec
	s_or_b64 s[40:41], s[40:41], s[44:45]
	s_and_b64 s[44:45], s[14:15], exec
; %bb.613:                              ;   in Loop: Header=BB8_77 Depth=1
	s_or_b64 exec, exec, s[94:95]
	s_andn2_b64 s[94:95], s[88:89], exec
	s_and_b64 s[40:41], s[40:41], exec
	s_or_b64 s[40:41], s[94:95], s[40:41]
	s_and_b64 s[44:45], s[44:45], exec
.LBB8_614:                              ;   in Loop: Header=BB8_77 Depth=1
	s_or_b64 exec, exec, s[42:43]
	s_andn2_b64 s[42:43], s[88:89], exec
	s_and_b64 s[40:41], s[40:41], exec
	s_or_b64 s[40:41], s[42:43], s[40:41]
	s_and_b64 s[42:43], s[44:45], exec
                                        ; implicit-def: $vgpr84
                                        ; implicit-def: $vgpr41
                                        ; implicit-def: $vgpr10_vgpr11
.LBB8_615:                              ;   in Loop: Header=BB8_77 Depth=1
	s_andn2_saveexec_b64 s[44:45], s[92:93]
	s_cbranch_execz .LBB8_984
; %bb.616:                              ;   in Loop: Header=BB8_77 Depth=1
	v_mov_b32_e32 v2, 0
	s_and_saveexec_b64 s[92:93], s[28:29]
	s_cbranch_execz .LBB8_896
; %bb.617:                              ;   in Loop: Header=BB8_77 Depth=1
	s_and_saveexec_b64 s[28:29], s[0:1]
	s_cbranch_execz .LBB8_619
; %bb.618:                              ;   in Loop: Header=BB8_77 Depth=1
	s_trap 2
	ds_read_b64 v[12:13], v0
	s_waitcnt lgkmcnt(0)
	v_lshl_add_u64 v[10:11], v[12:13], 0, v[10:11]
	ds_write_b64 v0, v[10:11]
	ds_write_b64 v0, v[56:57]
.LBB8_619:                              ;   in Loop: Header=BB8_77 Depth=1
	s_or_b64 exec, exec, s[28:29]
	v_and_b32_e32 v2, 8, v114
	v_min_i32_e32 v84, v84, v41
	v_cmp_ne_u32_e32 vcc, 0, v2
	s_and_saveexec_b64 s[94:95], vcc
	s_cbranch_execz .LBB8_641
; %bb.620:                              ;   in Loop: Header=BB8_77 Depth=1
	s_waitcnt vmcnt(0) lgkmcnt(0)
	v_lshl_add_u64 v[12:13], v[32:33], 0, 8
	v_lshl_add_u64 v[10:11], v[8:9], 0, 1
	v_cmp_lt_u64_e32 vcc, v[12:13], v[10:11]
	s_and_saveexec_b64 s[30:31], vcc
	s_cbranch_execz .LBB8_632
; %bb.621:                              ;   in Loop: Header=BB8_77 Depth=1
	v_and_b32_e32 v2, 64, v114
	s_mov_b32 s71, 0
	v_cmp_eq_u32_e32 vcc, 0, v2
	s_mov_b64 s[34:35], 0
                                        ; implicit-def: $sgpr36_sgpr37
                                        ; implicit-def: $sgpr38_sgpr39
                                        ; implicit-def: $sgpr48_sgpr49
	s_branch .LBB8_625
.LBB8_622:                              ;   in Loop: Header=BB8_625 Depth=2
	s_waitcnt vmcnt(0) lgkmcnt(0)
	v_lshl_add_u64 v[12:13], v[32:33], 0, 8
	v_cmp_ge_u64_e64 s[28:29], v[12:13], v[10:11]
	s_or_b64 s[54:55], s[54:55], exec
	s_orn2_b64 s[52:53], s[28:29], exec
.LBB8_623:                              ;   in Loop: Header=BB8_625 Depth=2
	s_or_b64 exec, exec, s[66:67]
	s_andn2_b64 s[28:29], s[48:49], exec
	s_and_b64 s[48:49], s[54:55], exec
	s_or_b64 s[48:49], s[28:29], s[48:49]
	s_andn2_b64 s[28:29], s[38:39], exec
	s_and_b64 s[38:39], s[52:53], exec
	s_or_b64 s[38:39], s[28:29], s[38:39]
.LBB8_624:                              ;   in Loop: Header=BB8_625 Depth=2
	s_or_b64 exec, exec, s[50:51]
	s_and_b64 s[28:29], exec, s[38:39]
	s_or_b64 s[34:35], s[28:29], s[34:35]
	s_andn2_b64 s[28:29], s[36:37], exec
	s_and_b64 s[36:37], s[48:49], exec
	s_or_b64 s[36:37], s[28:29], s[36:37]
	s_andn2_b64 exec, exec, s[34:35]
	s_cbranch_execz .LBB8_629
.LBB8_625:                              ;   Parent Loop BB8_77 Depth=1
                                        ; =>  This Inner Loop Header: Depth=2
	s_sleep 1
	s_waitcnt vmcnt(0) lgkmcnt(0)
	flat_load_dwordx2 v[32:33], v[20:21] sc0 sc1
	s_or_b64 s[48:49], s[48:49], exec
	s_or_b64 s[38:39], s[38:39], exec
                                        ; implicit-def: $vgpr2
	s_and_saveexec_b64 s[50:51], vcc
	s_cbranch_execz .LBB8_624
; %bb.626:                              ;   in Loop: Header=BB8_625 Depth=2
	s_cmpk_lt_i32 s71, 0x270f
	s_cselect_b64 s[64:65], -1, 0
	s_cmpk_gt_i32 s71, 0x270e
	s_mov_b64 s[52:53], -1
	s_cbranch_scc0 .LBB8_628
; %bb.627:                              ;   in Loop: Header=BB8_625 Depth=2
	s_trap 2
	ds_read_b64 v[12:13], v0
	s_andn2_b64 s[64:65], s[64:65], exec
	s_mov_b32 s71, 0
	s_mov_b64 s[54:55], 0
	s_waitcnt vmcnt(0) lgkmcnt(0)
	flat_load_dword v2, v[12:13] sc0 sc1
	s_waitcnt vmcnt(0) lgkmcnt(0)
	buffer_inv sc0 sc1
	v_cmp_eq_u32_e64 s[28:29], 0, v2
	s_and_b64 s[28:29], s[28:29], exec
	s_or_b64 s[64:65], s[64:65], s[28:29]
	s_and_saveexec_b64 s[66:67], s[64:65]
	s_cbranch_execz .LBB8_623
	s_branch .LBB8_622
.LBB8_628:                              ;   in Loop: Header=BB8_625 Depth=2
	s_add_i32 s71, s71, 1
	s_mov_b64 s[54:55], -1
                                        ; implicit-def: $vgpr2
	s_and_saveexec_b64 s[66:67], s[64:65]
	s_cbranch_execz .LBB8_623
	s_branch .LBB8_622
.LBB8_629:                              ;   in Loop: Header=BB8_77 Depth=1
	s_or_b64 exec, exec, s[34:35]
	s_xor_b64 s[28:29], s[36:37], -1
	s_and_saveexec_b64 vcc, s[28:29]
	s_xor_b64 s[28:29], exec, vcc
	s_cbranch_execz .LBB8_631
; %bb.630:                              ;   in Loop: Header=BB8_77 Depth=1
	v_or_b32_e32 v114, 64, v114
	s_waitcnt lgkmcnt(0)
	ds_write_b32 v0, v2
	s_trap 2
.LBB8_631:                              ;   in Loop: Header=BB8_77 Depth=1
	s_or_b64 exec, exec, s[28:29]
.LBB8_632:                              ;   in Loop: Header=BB8_77 Depth=1
	s_or_b64 exec, exec, s[30:31]
	v_and_b32_e32 v2, 0x100, v114
	v_cmp_ne_u32_e32 vcc, 0, v2
	v_and_b32_e32 v2, 7, v8
	s_mov_b64 s[28:29], -1
	;;#ASMSTART
	s_wakeup
	;;#ASMEND
                                        ; implicit-def: $vgpr8_vgpr9
	s_and_saveexec_b64 s[30:31], vcc
	s_cbranch_execz .LBB8_636
; %bb.633:                              ;   in Loop: Header=BB8_77 Depth=1
	v_mad_u64_u32 v[12:13], s[28:29], v2, 24, v[6:7]
	flat_load_dword v8, v[12:13]
	v_ashrrev_i32_e32 v85, 31, v84
	flat_store_dwordx2 v[12:13], v[84:85] offset:8
	s_waitcnt vmcnt(0) lgkmcnt(0)
	v_cmp_ne_u32_e32 vcc, 1, v8
	v_cmp_eq_u32_e64 s[28:29], 1, v8
                                        ; implicit-def: $vgpr8_vgpr9
	s_and_saveexec_b64 s[34:35], s[28:29]
	s_cbranch_execz .LBB8_635
; %bb.634:                              ;   in Loop: Header=BB8_77 Depth=1
	flat_load_dword v8, v[12:13] offset:4 sc0 sc1
	s_waitcnt vmcnt(0) lgkmcnt(0)
	v_ashrrev_i32_e32 v9, 31, v8
.LBB8_635:                              ;   in Loop: Header=BB8_77 Depth=1
	s_or_b64 exec, exec, s[34:35]
	s_orn2_b64 s[28:29], vcc, exec
.LBB8_636:                              ;   in Loop: Header=BB8_77 Depth=1
	s_or_b64 exec, exec, s[30:31]
	s_and_saveexec_b64 vcc, s[28:29]
; %bb.637:                              ;   in Loop: Header=BB8_77 Depth=1
	v_mad_i64_i32 v[8:9], s[28:29], v2, v22, 0
; %bb.638:                              ;   in Loop: Header=BB8_77 Depth=1
	s_or_b64 exec, exec, vcc
	v_and_b32_e32 v2, 0x2000, v114
	v_lshl_add_u64 v[8:9], v[24:25], 0, v[8:9]
	v_cmp_ne_u32_e32 vcc, 0, v2
	ds_write_b64 v0, v[8:9] offset:784
	s_and_saveexec_b64 s[28:29], vcc
	s_cbranch_execz .LBB8_640
; %bb.639:                              ;   in Loop: Header=BB8_77 Depth=1
	ds_read_b64 v[8:9], v0 offset:872
	s_waitcnt lgkmcnt(0)
	v_lshl_add_u64 v[8:9], v[8:9], 0, 1
	ds_write_b64 v0, v[8:9] offset:872
.LBB8_640:                              ;   in Loop: Header=BB8_77 Depth=1
	s_or_b64 exec, exec, s[28:29]
	v_mov_b64_e32 v[8:9], v[10:11]
.LBB8_641:                              ;   in Loop: Header=BB8_77 Depth=1
	s_or_b64 exec, exec, s[94:95]
	s_and_saveexec_b64 s[28:29], s[10:11]
	s_cbranch_execz .LBB8_679
; %bb.642:                              ;   in Loop: Header=BB8_77 Depth=1
	s_and_saveexec_b64 s[94:95], s[60:61]
	s_xor_b64 s[94:95], exec, s[94:95]
	s_cbranch_execz .LBB8_676
; %bb.643:                              ;   in Loop: Header=BB8_77 Depth=1
	s_and_saveexec_b64 s[30:31], s[16:17]
	s_cbranch_execz .LBB8_675
; %bb.644:                              ;   in Loop: Header=BB8_77 Depth=1
	s_mov_b64 s[36:37], exec
	v_mbcnt_lo_u32_b32 v2, s36, 0
	v_mbcnt_hi_u32_b32 v2, s37, v2
	v_cmp_eq_u32_e32 vcc, 0, v2
	s_waitcnt lgkmcnt(0)
	s_and_saveexec_b64 s[34:35], vcc
	s_cbranch_execz .LBB8_646
; %bb.645:                              ;   in Loop: Header=BB8_77 Depth=1
	s_bcnt1_i32_b64 vcc_lo, s[36:37]
	v_mov_b32_e32 v2, vcc_lo
	ds_add_u64 v0, v[2:3]
	s_trap 2
.LBB8_646:                              ;   in Loop: Header=BB8_77 Depth=1
	s_or_b64 exec, exec, s[34:35]
	s_trap 2
	ds_read_b64 v[10:11], v0
	s_waitcnt lgkmcnt(0)
	v_lshl_add_u64 v[26:27], v[26:27], 0, v[34:35]
	v_cmp_lt_u64_e32 vcc, v[10:11], v[26:27]
	s_and_saveexec_b64 s[34:35], vcc
	s_cbranch_execz .LBB8_674
; %bb.647:                              ;   in Loop: Header=BB8_77 Depth=1
	s_mov_b32 s54, 0
	s_mov_b64 s[36:37], 0
                                        ; implicit-def: $sgpr38_sgpr39
                                        ; implicit-def: $sgpr48_sgpr49
	s_branch .LBB8_649
.LBB8_648:                              ;   in Loop: Header=BB8_649 Depth=2
	s_or_b64 exec, exec, s[52:53]
	s_and_b64 vcc, exec, vcc
	s_or_b64 s[36:37], vcc, s[36:37]
	s_andn2_b64 vcc, s[38:39], exec
	s_and_b64 s[38:39], s[48:49], exec
	s_or_b64 s[38:39], vcc, s[38:39]
	s_andn2_b64 exec, exec, s[36:37]
	s_cbranch_execz .LBB8_672
.LBB8_649:                              ;   Parent Loop BB8_77 Depth=1
                                        ; =>  This Inner Loop Header: Depth=2
	s_add_i32 s54, s54, 1
	s_cmpk_lg_i32 s54, 0x2710
	s_cselect_b64 s[50:51], -1, 0
	s_and_b64 vcc, exec, s[50:51]
	s_cbranch_vccz .LBB8_651
; %bb.650:                              ;   in Loop: Header=BB8_649 Depth=2
	s_mov_b64 vcc, -1
	s_or_b64 s[48:49], s[48:49], exec
	s_and_saveexec_b64 s[52:53], s[50:51]
	s_cbranch_execz .LBB8_648
	s_branch .LBB8_652
.LBB8_651:                              ;   in Loop: Header=BB8_649 Depth=2
	s_trap 2
	ds_read_b64 v[10:11], v0
	s_andn2_b64 s[50:51], s[50:51], exec
	s_mov_b32 s54, 0
	s_waitcnt vmcnt(0) lgkmcnt(0)
	flat_load_dword v2, v[10:11] sc0 sc1
	s_waitcnt vmcnt(0) lgkmcnt(0)
	buffer_inv sc0 sc1
	v_cmp_eq_u32_e32 vcc, 0, v2
	s_and_b64 vcc, vcc, exec
	s_or_b64 s[50:51], s[50:51], vcc
	s_mov_b64 vcc, -1
	s_or_b64 s[48:49], s[48:49], exec
	s_and_saveexec_b64 s[52:53], s[50:51]
	s_cbranch_execz .LBB8_648
.LBB8_652:                              ;   in Loop: Header=BB8_649 Depth=2
	s_sleep 1
	s_trap 2
	ds_read_b64 v[10:11], v0
	s_waitcnt lgkmcnt(0)
	s_andn2_b64 s[48:49], s[48:49], exec
	v_cmp_ge_u64_e32 vcc, v[10:11], v[26:27]
	s_orn2_b64 vcc, vcc, exec
	s_branch .LBB8_648
.LBB8_653:                              ;   in Loop: Header=BB8_77 Depth=1
	s_or_b64 exec, exec, s[34:35]
	s_and_saveexec_b64 vcc, s[36:37]
	s_xor_b64 vcc, exec, vcc
	s_cbranch_execz .LBB8_655
; %bb.654:                              ;   in Loop: Header=BB8_77 Depth=1
	ds_write_b32 v0, v116
	s_trap 2
.LBB8_655:                              ;   in Loop: Header=BB8_77 Depth=1
	s_or_b64 exec, exec, s[30:31]
	;;#ASMSTART
	s_wakeup
	;;#ASMEND
.LBB8_656:                              ;   in Loop: Header=BB8_77 Depth=1
	s_or_b64 exec, exec, s[94:95]
.LBB8_657:                              ;   in Loop: Header=BB8_77 Depth=1
	s_andn2_saveexec_b64 s[92:93], s[92:93]
	s_cbranch_execz .LBB8_659
; %bb.658:                              ;   in Loop: Header=BB8_77 Depth=1
	s_waitcnt lgkmcnt(0)
	s_barrier
.LBB8_659:                              ;   in Loop: Header=BB8_77 Depth=1
	s_or_b64 exec, exec, s[92:93]
.LBB8_660:                              ;   in Loop: Header=BB8_77 Depth=1
	s_or_b64 exec, exec, s[40:41]
	s_trap 2
	ds_read_b32 v85, v0
	v_and_b32_e32 v2, 0x4000, v114
	v_cmp_ne_u32_e32 vcc, 0, v2
	s_xor_b64 s[40:41], s[6:7], -1
	s_and_b64 s[92:93], s[40:41], vcc
	s_and_saveexec_b64 s[40:41], s[92:93]
	s_cbranch_execz .LBB8_698
; %bb.661:                              ;   in Loop: Header=BB8_77 Depth=1
	s_and_saveexec_b64 s[92:93], s[60:61]
	s_xor_b64 s[92:93], exec, s[92:93]
	s_cbranch_execz .LBB8_695
; %bb.662:                              ;   in Loop: Header=BB8_77 Depth=1
	s_and_saveexec_b64 s[94:95], s[16:17]
	s_cbranch_execz .LBB8_694
; %bb.663:                              ;   in Loop: Header=BB8_77 Depth=1
	s_mov_b64 s[34:35], exec
	v_mbcnt_lo_u32_b32 v2, s34, 0
	v_mbcnt_hi_u32_b32 v2, s35, v2
	v_cmp_eq_u32_e32 vcc, 0, v2
	s_waitcnt lgkmcnt(0)
	s_and_saveexec_b64 s[30:31], vcc
	s_cbranch_execz .LBB8_665
; %bb.664:                              ;   in Loop: Header=BB8_77 Depth=1
	s_bcnt1_i32_b64 vcc_lo, s[34:35]
	v_mov_b32_e32 v2, vcc_lo
	ds_add_u64 v0, v[2:3]
	s_trap 2
.LBB8_665:                              ;   in Loop: Header=BB8_77 Depth=1
	s_or_b64 exec, exec, s[30:31]
	s_trap 2
	ds_read_b64 v[10:11], v0
	s_waitcnt lgkmcnt(0)
	v_lshl_add_u64 v[26:27], v[26:27], 0, v[34:35]
	v_cmp_lt_u64_e32 vcc, v[10:11], v[26:27]
	s_and_saveexec_b64 s[30:31], vcc
	s_cbranch_execz .LBB8_693
; %bb.666:                              ;   in Loop: Header=BB8_77 Depth=1
	s_mov_b32 s52, 0
	s_mov_b64 s[34:35], 0
                                        ; implicit-def: $sgpr36_sgpr37
                                        ; implicit-def: $sgpr38_sgpr39
	s_branch .LBB8_668
.LBB8_667:                              ;   in Loop: Header=BB8_668 Depth=2
	s_or_b64 exec, exec, s[50:51]
	s_and_b64 vcc, exec, vcc
	s_or_b64 s[34:35], vcc, s[34:35]
	s_andn2_b64 vcc, s[36:37], exec
	s_and_b64 s[36:37], s[38:39], exec
	s_or_b64 s[36:37], vcc, s[36:37]
	s_andn2_b64 exec, exec, s[34:35]
	s_cbranch_execz .LBB8_691
.LBB8_668:                              ;   Parent Loop BB8_77 Depth=1
                                        ; =>  This Inner Loop Header: Depth=2
	s_add_i32 s52, s52, 1
	s_cmpk_lg_i32 s52, 0x2710
	s_cselect_b64 s[48:49], -1, 0
	s_and_b64 vcc, exec, s[48:49]
	s_cbranch_vccz .LBB8_670
; %bb.669:                              ;   in Loop: Header=BB8_668 Depth=2
	s_mov_b64 vcc, -1
	s_or_b64 s[38:39], s[38:39], exec
	s_and_saveexec_b64 s[50:51], s[48:49]
	s_cbranch_execz .LBB8_667
	s_branch .LBB8_671
.LBB8_670:                              ;   in Loop: Header=BB8_668 Depth=2
	s_trap 2
	ds_read_b64 v[10:11], v0
	s_andn2_b64 s[48:49], s[48:49], exec
	s_mov_b32 s52, 0
	s_waitcnt vmcnt(0) lgkmcnt(0)
	flat_load_dword v2, v[10:11] sc0 sc1
	s_waitcnt vmcnt(0) lgkmcnt(0)
	buffer_inv sc0 sc1
	v_cmp_eq_u32_e32 vcc, 0, v2
	s_and_b64 vcc, vcc, exec
	s_or_b64 s[48:49], s[48:49], vcc
	s_mov_b64 vcc, -1
	s_or_b64 s[38:39], s[38:39], exec
	s_and_saveexec_b64 s[50:51], s[48:49]
	s_cbranch_execz .LBB8_667
.LBB8_671:                              ;   in Loop: Header=BB8_668 Depth=2
	s_sleep 1
	s_trap 2
	ds_read_b64 v[10:11], v0
	s_waitcnt lgkmcnt(0)
	s_andn2_b64 s[38:39], s[38:39], exec
	v_cmp_ge_u64_e32 vcc, v[10:11], v[26:27]
	s_orn2_b64 vcc, vcc, exec
	s_branch .LBB8_667
.LBB8_672:                              ;   in Loop: Header=BB8_77 Depth=1
	s_or_b64 exec, exec, s[36:37]
	s_and_saveexec_b64 vcc, s[38:39]
	s_xor_b64 vcc, exec, vcc
	s_cbranch_execz .LBB8_674
; %bb.673:                              ;   in Loop: Header=BB8_77 Depth=1
	ds_write_b32 v0, v116
	s_trap 2
.LBB8_674:                              ;   in Loop: Header=BB8_77 Depth=1
	s_or_b64 exec, exec, s[34:35]
	;;#ASMSTART
	s_wakeup
	;;#ASMEND
.LBB8_675:                              ;   in Loop: Header=BB8_77 Depth=1
	s_or_b64 exec, exec, s[30:31]
.LBB8_676:                              ;   in Loop: Header=BB8_77 Depth=1
	s_andn2_saveexec_b64 s[94:95], s[94:95]
	s_cbranch_execz .LBB8_678
; %bb.677:                              ;   in Loop: Header=BB8_77 Depth=1
	s_waitcnt lgkmcnt(0)
	s_barrier
.LBB8_678:                              ;   in Loop: Header=BB8_77 Depth=1
	s_or_b64 exec, exec, s[94:95]
.LBB8_679:                              ;   in Loop: Header=BB8_77 Depth=1
	s_or_b64 exec, exec, s[28:29]
	s_trap 2
	ds_read_b32 v85, v0
	v_and_b32_e32 v2, 0x4000, v114
	v_cmp_ne_u32_e32 vcc, 0, v2
	s_xor_b64 s[28:29], s[6:7], -1
	s_and_b64 s[94:95], s[28:29], vcc
	s_and_saveexec_b64 s[28:29], s[94:95]
	s_cbranch_execz .LBB8_751
; %bb.680:                              ;   in Loop: Header=BB8_77 Depth=1
	s_and_saveexec_b64 s[94:95], s[60:61]
	s_xor_b64 s[94:95], exec, s[94:95]
	s_cbranch_execz .LBB8_748
; %bb.681:                              ;   in Loop: Header=BB8_77 Depth=1
	s_and_saveexec_b64 s[30:31], s[16:17]
	s_cbranch_execz .LBB8_747
; %bb.682:                              ;   in Loop: Header=BB8_77 Depth=1
	s_mov_b64 s[36:37], exec
	v_mbcnt_lo_u32_b32 v2, s36, 0
	v_mbcnt_hi_u32_b32 v2, s37, v2
	v_cmp_eq_u32_e32 vcc, 0, v2
	s_waitcnt lgkmcnt(0)
	s_and_saveexec_b64 s[34:35], vcc
	s_cbranch_execz .LBB8_684
; %bb.683:                              ;   in Loop: Header=BB8_77 Depth=1
	s_bcnt1_i32_b64 vcc_lo, s[36:37]
	v_mov_b32_e32 v2, vcc_lo
	ds_add_u64 v0, v[2:3]
	s_trap 2
.LBB8_684:                              ;   in Loop: Header=BB8_77 Depth=1
	s_or_b64 exec, exec, s[34:35]
	s_trap 2
	ds_read_b64 v[10:11], v0
	s_waitcnt lgkmcnt(0)
	v_lshl_add_u64 v[26:27], v[26:27], 0, v[34:35]
	v_cmp_lt_u64_e32 vcc, v[10:11], v[26:27]
	s_and_saveexec_b64 s[34:35], vcc
	s_cbranch_execz .LBB8_746
; %bb.685:                              ;   in Loop: Header=BB8_77 Depth=1
	s_mov_b32 s54, 0
	s_mov_b64 s[36:37], 0
                                        ; implicit-def: $sgpr38_sgpr39
                                        ; implicit-def: $sgpr48_sgpr49
	s_branch .LBB8_687
.LBB8_686:                              ;   in Loop: Header=BB8_687 Depth=2
	s_or_b64 exec, exec, s[52:53]
	s_and_b64 vcc, exec, vcc
	s_or_b64 s[36:37], vcc, s[36:37]
	s_andn2_b64 vcc, s[38:39], exec
	s_and_b64 s[38:39], s[48:49], exec
	s_or_b64 s[38:39], vcc, s[38:39]
	s_andn2_b64 exec, exec, s[36:37]
	s_cbranch_execz .LBB8_744
.LBB8_687:                              ;   Parent Loop BB8_77 Depth=1
                                        ; =>  This Inner Loop Header: Depth=2
	s_add_i32 s54, s54, 1
	s_cmpk_lg_i32 s54, 0x2710
	s_cselect_b64 s[50:51], -1, 0
	s_and_b64 vcc, exec, s[50:51]
	s_cbranch_vccz .LBB8_689
; %bb.688:                              ;   in Loop: Header=BB8_687 Depth=2
	s_mov_b64 vcc, -1
	s_or_b64 s[48:49], s[48:49], exec
	s_and_saveexec_b64 s[52:53], s[50:51]
	s_cbranch_execz .LBB8_686
	s_branch .LBB8_690
.LBB8_689:                              ;   in Loop: Header=BB8_687 Depth=2
	s_trap 2
	ds_read_b64 v[10:11], v0
	s_andn2_b64 s[50:51], s[50:51], exec
	s_mov_b32 s54, 0
	s_waitcnt vmcnt(0) lgkmcnt(0)
	flat_load_dword v2, v[10:11] sc0 sc1
	s_waitcnt vmcnt(0) lgkmcnt(0)
	buffer_inv sc0 sc1
	v_cmp_eq_u32_e32 vcc, 0, v2
	s_and_b64 vcc, vcc, exec
	s_or_b64 s[50:51], s[50:51], vcc
	s_mov_b64 vcc, -1
	s_or_b64 s[48:49], s[48:49], exec
	s_and_saveexec_b64 s[52:53], s[50:51]
	s_cbranch_execz .LBB8_686
.LBB8_690:                              ;   in Loop: Header=BB8_687 Depth=2
	s_sleep 1
	s_trap 2
	ds_read_b64 v[10:11], v0
	s_waitcnt lgkmcnt(0)
	s_andn2_b64 s[48:49], s[48:49], exec
	v_cmp_ge_u64_e32 vcc, v[10:11], v[26:27]
	s_orn2_b64 vcc, vcc, exec
	s_branch .LBB8_686
.LBB8_691:                              ;   in Loop: Header=BB8_77 Depth=1
	s_or_b64 exec, exec, s[34:35]
	s_and_saveexec_b64 vcc, s[36:37]
	s_xor_b64 vcc, exec, vcc
	s_cbranch_execz .LBB8_693
; %bb.692:                              ;   in Loop: Header=BB8_77 Depth=1
	ds_write_b32 v0, v116
	s_trap 2
.LBB8_693:                              ;   in Loop: Header=BB8_77 Depth=1
	s_or_b64 exec, exec, s[30:31]
	;;#ASMSTART
	s_wakeup
	;;#ASMEND
.LBB8_694:                              ;   in Loop: Header=BB8_77 Depth=1
	s_or_b64 exec, exec, s[94:95]
.LBB8_695:                              ;   in Loop: Header=BB8_77 Depth=1
	s_andn2_saveexec_b64 s[92:93], s[92:93]
	s_cbranch_execz .LBB8_697
; %bb.696:                              ;   in Loop: Header=BB8_77 Depth=1
	s_waitcnt lgkmcnt(0)
	s_barrier
.LBB8_697:                              ;   in Loop: Header=BB8_77 Depth=1
	s_or_b64 exec, exec, s[92:93]
.LBB8_698:                              ;   in Loop: Header=BB8_77 Depth=1
	s_or_b64 exec, exec, s[40:41]
	s_trap 2
	ds_read_b64 v[10:11], v0
	v_min_i32_e32 v84, v84, v41
	s_waitcnt lgkmcnt(0)
	v_cmp_eq_u64_e32 vcc, 0, v[10:11]
	s_cbranch_vccnz .LBB8_732
; %bb.699:                              ;   in Loop: Header=BB8_77 Depth=1
	s_trap 2
	ds_read_b64 v[12:13], v0
	s_waitcnt lgkmcnt(0)
	v_cmp_eq_u64_e32 vcc, 0, v[12:13]
	s_cbranch_vccnz .LBB8_732
; %bb.700:                              ;   in Loop: Header=BB8_77 Depth=1
	s_mov_b64 s[40:41], -1
	s_and_saveexec_b64 s[92:93], s[18:19]
	s_cbranch_execz .LBB8_702
; %bb.701:                              ;   in Loop: Header=BB8_77 Depth=1
	ds_read_b32 v2, v0 offset:720
	s_waitcnt lgkmcnt(0)
	v_and_b32_e32 v2, 15, v2
	v_cmp_eq_u32_e32 vcc, 0, v2
	s_orn2_b64 s[40:41], vcc, exec
.LBB8_702:                              ;   in Loop: Header=BB8_77 Depth=1
	s_or_b64 exec, exec, s[92:93]
	s_and_saveexec_b64 s[92:93], s[22:23]
	s_cbranch_execz .LBB8_704
; %bb.703:                              ;   in Loop: Header=BB8_77 Depth=1
	ds_read_b32 v2, v0 offset:784
	s_waitcnt lgkmcnt(0)
	v_and_b32_e32 v2, 15, v2
	v_cmp_eq_u32_e32 vcc, 0, v2
	s_and_b64 s[94:95], s[40:41], vcc
	s_andn2_b64 s[40:41], s[40:41], exec
	s_and_b64 s[94:95], s[94:95], exec
	s_or_b64 s[40:41], s[40:41], s[94:95]
.LBB8_704:                              ;   in Loop: Header=BB8_77 Depth=1
	s_or_b64 exec, exec, s[92:93]
	v_cmp_eq_u32_e32 vcc, 0, v85
	s_xor_b64 s[40:41], s[40:41], -1
	v_cndmask_b32_e64 v85, 0, 1, s[40:41]
	v_cndmask_b32_e32 v2, 0, v84, vcc
	s_mov_b64 s[94:95], -1
	v_cmp_ne_u32_e32 vcc, 0, v85
	v_mov_b32_e32 v85, 0
	v_mov_b32_e32 v96, v2
	;; [unrolled: 1-line block ×4, first 2 shown]
	s_cbranch_vccnz .LBB8_718
; %bb.705:                              ;   in Loop: Header=BB8_77 Depth=1
	v_ashrrev_i32_e32 v85, 31, v2
	v_lshrrev_b32_e32 v85, 20, v85
	v_add_u32_e32 v85, v2, v85
	v_ashrrev_i32_e32 v85, 12, v85
	v_sub_u32_e32 v99, v85, v119
	v_cmp_lt_i32_e32 vcc, 0, v99
	s_and_saveexec_b64 s[40:41], vcc
	s_cbranch_execz .LBB8_709
; %bb.706:                              ;   in Loop: Header=BB8_77 Depth=1
	s_mov_b64 s[92:93], 0
	v_mov_b64_e32 v[86:87], v[12:13]
	v_mov_b64_e32 v[96:97], v[10:11]
.LBB8_707:                              ;   Parent Loop BB8_77 Depth=1
                                        ; =>  This Inner Loop Header: Depth=2
	v_lshl_add_u64 v[112:113], v[82:83], 0, v[96:97]
	global_load_dwordx4 v[100:103], v[112:113], off nt
	global_load_dwordx4 v[42:45], v[112:113], off offset:1024 nt
	global_load_dwordx4 v[58:61], v[112:113], off offset:2048 nt
	;; [unrolled: 1-line block ×3, first 2 shown]
	v_sub_u32_e32 v99, v99, v34
	v_cmp_gt_i32_e32 vcc, 1, v99
	v_lshl_add_u64 v[112:113], v[82:83], 0, v[86:87]
	v_lshl_add_u64 v[96:97], v[96:97], 0, v[54:55]
	;; [unrolled: 1-line block ×3, first 2 shown]
	s_or_b64 s[92:93], vcc, s[92:93]
	s_waitcnt vmcnt(0)
	global_store_dwordx4 v[112:113], v[100:103], off
	global_store_dwordx4 v[112:113], v[42:45], off offset:1024
	global_store_dwordx4 v[112:113], v[58:61], off offset:2048
	;; [unrolled: 1-line block ×3, first 2 shown]
	s_andn2_b64 exec, exec, s[92:93]
	s_cbranch_execnz .LBB8_707
; %bb.708:                              ;   in Loop: Header=BB8_77 Depth=1
	s_or_b64 exec, exec, s[92:93]
.LBB8_709:                              ;   in Loop: Header=BB8_77 Depth=1
	s_or_b64 exec, exec, s[40:41]
	v_lshlrev_b32_e32 v98, 12, v85
	v_cmp_ne_u32_e32 vcc, v2, v98
	s_mov_b64 s[94:95], 0
	v_mov_b32_e32 v85, 0
                                        ; implicit-def: $vgpr96
                                        ; implicit-def: $vgpr97
                                        ; implicit-def: $vgpr86
	s_and_saveexec_b64 s[92:93], vcc
	s_cbranch_execz .LBB8_717
; %bb.710:                              ;   in Loop: Header=BB8_77 Depth=1
	v_lshlrev_b32_e32 v85, 6, v99
	v_sub_u32_e32 v85, v40, v85
	v_sub_u32_e32 v87, v2, v98
	v_ashrrev_i32_e32 v86, 31, v85
	v_lshrrev_b32_e32 v86, 26, v86
	v_ashrrev_i32_e32 v97, 31, v87
	v_add_u32_e32 v86, v85, v86
	v_lshrrev_b32_e32 v97, 22, v97
	v_ashrrev_i32_e32 v96, 6, v86
	v_and_b32_e32 v86, 0xffffffc0, v86
	v_add_u32_e32 v97, v87, v97
	v_sub_u32_e32 v99, v85, v86
	v_and_b32_e32 v100, 0xfffffc00, v97
	v_lshlrev_b32_e32 v85, 4, v99
	v_sub_u32_e32 v102, v87, v100
	v_lshl_add_u32 v86, v96, 10, v85
	v_ashrrev_i32_e32 v101, 10, v97
	v_cmp_lt_i32_e32 vcc, 15, v102
	v_sub_u32_e32 v85, v87, v86
	s_nop 0
	v_addc_co_u32_e64 v87, s[40:41], 0, v101, vcc
	v_sub_u32_e32 v101, v87, v96
	v_cmp_lt_i32_e64 s[40:41], 15, v85
	s_and_saveexec_b64 s[94:95], s[40:41]
	s_cbranch_execz .LBB8_714
; %bb.711:                              ;   in Loop: Header=BB8_77 Depth=1
	v_add_u32_e32 v86, v86, v98
	v_ashrrev_i32_e32 v87, 31, v86
	s_mov_b64 s[30:31], 0
.LBB8_712:                              ;   Parent Loop BB8_77 Depth=1
                                        ; =>  This Inner Loop Header: Depth=2
	v_lshl_add_u64 v[96:97], v[10:11], 0, v[86:87]
	global_load_dwordx4 v[42:45], v[96:97], off nt
	v_sub_u32_e32 v85, v85, v50
	v_cmp_gt_i32_e64 s[40:41], 16, v85
	v_lshl_add_u64 v[96:97], v[12:13], 0, v[86:87]
	v_sub_u32_e32 v101, v101, v34
	v_lshl_add_u64 v[86:87], v[86:87], 0, v[70:71]
	s_or_b64 s[30:31], s[40:41], s[30:31]
	s_waitcnt vmcnt(0)
	global_store_dwordx4 v[96:97], v[42:45], off
	s_andn2_b64 exec, exec, s[30:31]
	s_cbranch_execnz .LBB8_712
; %bb.713:                              ;   in Loop: Header=BB8_77 Depth=1
	s_or_b64 exec, exec, s[30:31]
.LBB8_714:                              ;   in Loop: Header=BB8_77 Depth=1
	s_or_b64 exec, exec, s[94:95]
	v_and_b32_e32 v87, 15, v2
	v_cndmask_b32_e32 v96, v102, v87, vcc
	v_mov_b32_e32 v85, 0
	v_cmp_ne_u32_e64 s[40:41], 0, v96
	s_mov_b64 s[94:95], 0
                                        ; implicit-def: $vgpr97
                                        ; implicit-def: $vgpr86
	s_and_saveexec_b64 s[30:31], s[40:41]
	s_cbranch_execz .LBB8_716
; %bb.715:                              ;   in Loop: Header=BB8_77 Depth=1
	v_sub_u32_e32 v85, v102, v87
	v_cndmask_b32_e32 v85, 0, v85, vcc
	v_cmp_lt_i32_e32 vcc, 0, v101
	s_mov_b64 s[94:95], exec
	v_add3_u32 v85, v100, v98, v85
	v_cndmask_b32_e32 v86, 0, v34, vcc
	v_sub_u32_e32 v86, v86, v101
	v_lshl_add_u32 v97, v86, 6, v99
	v_ashrrev_i32_e32 v86, 31, v97
	v_lshrrev_b32_e32 v86, 26, v86
	v_add_u32_e32 v86, v97, v86
	v_ashrrev_i32_e32 v86, 6, v86
.LBB8_716:                              ;   in Loop: Header=BB8_77 Depth=1
	s_or_b64 exec, exec, s[30:31]
	s_and_b64 s[94:95], s[94:95], exec
.LBB8_717:                              ;   in Loop: Header=BB8_77 Depth=1
	s_or_b64 exec, exec, s[92:93]
.LBB8_718:                              ;   in Loop: Header=BB8_77 Depth=1
	s_and_saveexec_b64 s[40:41], s[94:95]
	s_cbranch_execz .LBB8_727
; %bb.719:                              ;   in Loop: Header=BB8_77 Depth=1
	v_ashrrev_i32_e32 v87, 31, v96
	v_lshrrev_b32_e32 v87, 22, v87
	v_add_u32_e32 v87, v96, v87
	v_ashrrev_i32_e32 v100, 10, v87
	v_sub_u32_e32 v98, v100, v86
	v_ashrrev_i32_e32 v87, 31, v97
	v_cmp_lt_i32_e32 vcc, 0, v98
	v_lshrrev_b32_e32 v99, 26, v87
	s_and_saveexec_b64 s[92:93], vcc
	s_cbranch_execz .LBB8_723
; %bb.720:                              ;   in Loop: Header=BB8_77 Depth=1
	v_add_u32_e32 v87, v97, v99
	v_and_b32_e32 v87, 0xffffffc0, v87
	v_sub_u32_e32 v87, v97, v87
	v_lshlrev_b32_e32 v86, 10, v86
	v_add3_u32 v86, v85, v87, v86
	v_ashrrev_i32_e32 v87, 31, v86
	s_mov_b64 s[94:95], 0
.LBB8_721:                              ;   Parent Loop BB8_77 Depth=1
                                        ; =>  This Inner Loop Header: Depth=2
	v_lshl_add_u64 v[102:103], v[86:87], 0, v[10:11]
	flat_load_ubyte v101, v[102:103] nt
	flat_load_ubyte v112, v[102:103] offset:64 nt
	flat_load_ubyte v113, v[102:103] offset:128 nt
	;; [unrolled: 1-line block ×15, first 2 shown]
	v_sub_u32_e32 v98, v98, v34
	v_cmp_gt_i32_e32 vcc, 1, v98
	v_lshl_add_u64 v[102:103], v[86:87], 0, v[12:13]
	v_lshl_add_u64 v[10:11], v[10:11], 0, v[70:71]
	;; [unrolled: 1-line block ×3, first 2 shown]
	s_or_b64 s[94:95], vcc, s[94:95]
	s_waitcnt vmcnt(0) lgkmcnt(0)
	flat_store_byte v[102:103], v101 nt
	flat_store_byte v[102:103], v112 offset:64 nt
	flat_store_byte v[102:103], v113 offset:128 nt
	;; [unrolled: 1-line block ×15, first 2 shown]
	s_andn2_b64 exec, exec, s[94:95]
	s_cbranch_execnz .LBB8_721
; %bb.722:                              ;   in Loop: Header=BB8_77 Depth=1
	s_or_b64 exec, exec, s[94:95]
.LBB8_723:                              ;   in Loop: Header=BB8_77 Depth=1
	s_or_b64 exec, exec, s[92:93]
	v_lshlrev_b32_e32 v10, 10, v100
	v_cmp_ne_u32_e32 vcc, v96, v10
	s_and_b64 exec, exec, vcc
	s_cbranch_execz .LBB8_727
; %bb.724:                              ;   in Loop: Header=BB8_77 Depth=1
	v_add_u32_e32 v11, v97, v99
	v_and_b32_e32 v11, 0xffffffc0, v11
	v_sub_u32_e32 v11, v97, v11
	v_lshlrev_b32_e32 v12, 6, v98
	v_sub_u32_e32 v11, v11, v12
	v_add_u32_e32 v12, v10, v11
	v_sub_u32_e32 v86, v96, v12
	v_cmp_lt_i32_e32 vcc, 0, v86
	s_and_b64 exec, exec, vcc
	s_cbranch_execz .LBB8_727
; %bb.725:                              ;   in Loop: Header=BB8_77 Depth=1
	s_trap 2
	ds_read_b64 v[10:11], v0
	v_add_u32_e32 v12, v12, v85
	v_ashrrev_i32_e32 v13, 31, v12
	s_mov_b64 s[92:93], 0
.LBB8_726:                              ;   Parent Loop BB8_77 Depth=1
                                        ; =>  This Inner Loop Header: Depth=2
	s_waitcnt lgkmcnt(0)
	v_lshl_add_u64 v[96:97], v[10:11], 0, v[12:13]
	flat_load_ubyte v85, v[96:97] nt
	v_sub_u32_e32 v86, v86, v115
	v_cmp_gt_i32_e32 vcc, 1, v86
	v_lshl_add_u64 v[12:13], v[12:13], 0, v[68:69]
	s_or_b64 s[92:93], vcc, s[92:93]
	s_waitcnt vmcnt(0) lgkmcnt(0)
	flat_store_byte v[96:97], v85 nt
	s_andn2_b64 exec, exec, s[92:93]
	s_cbranch_execnz .LBB8_726
.LBB8_727:                              ;   in Loop: Header=BB8_77 Depth=1
	s_or_b64 exec, exec, s[40:41]
	v_cmp_lt_i32_e64 s[40:41], 0, v2
	s_and_saveexec_b64 s[92:93], s[10:11]
	s_cbranch_execnz .LBB8_733
.LBB8_728:                              ;   in Loop: Header=BB8_77 Depth=1
	s_or_b64 exec, exec, s[92:93]
	s_and_saveexec_b64 s[92:93], s[24:25]
	s_xor_b64 s[92:93], exec, s[92:93]
	s_cbranch_execz .LBB8_805
.LBB8_729:                              ;   in Loop: Header=BB8_77 Depth=1
	v_and_b32_e32 v2, 16, v114
	v_cmp_ne_u32_e32 vcc, 0, v2
	s_and_b64 s[94:95], vcc, s[40:41]
	s_and_saveexec_b64 s[40:41], s[94:95]
	s_cbranch_execz .LBB8_731
; %bb.730:                              ;   in Loop: Header=BB8_77 Depth=1
	buffer_wbl2 sc1
	s_waitcnt vmcnt(0) lgkmcnt(0)
	buffer_inv sc1
.LBB8_731:                              ;   in Loop: Header=BB8_77 Depth=1
	s_or_b64 exec, exec, s[40:41]
	s_andn2_saveexec_b64 s[40:41], s[92:93]
	s_cbranch_execz .LBB8_843
	s_branch .LBB8_806
.LBB8_732:                              ;   in Loop: Header=BB8_77 Depth=1
	s_mov_b64 s[40:41], 0
	s_and_saveexec_b64 s[92:93], s[10:11]
	s_cbranch_execz .LBB8_728
.LBB8_733:                              ;   in Loop: Header=BB8_77 Depth=1
	s_and_saveexec_b64 s[94:95], s[60:61]
	s_xor_b64 s[94:95], exec, s[94:95]
	s_cbranch_execz .LBB8_802
; %bb.734:                              ;   in Loop: Header=BB8_77 Depth=1
	s_and_saveexec_b64 s[30:31], s[16:17]
	s_cbranch_execz .LBB8_801
; %bb.735:                              ;   in Loop: Header=BB8_77 Depth=1
	s_mov_b64 s[36:37], exec
	v_mbcnt_lo_u32_b32 v2, s36, 0
	v_mbcnt_hi_u32_b32 v2, s37, v2
	v_cmp_eq_u32_e32 vcc, 0, v2
	s_waitcnt lgkmcnt(0)
	s_and_saveexec_b64 s[34:35], vcc
	s_cbranch_execz .LBB8_737
; %bb.736:                              ;   in Loop: Header=BB8_77 Depth=1
	s_bcnt1_i32_b64 vcc_lo, s[36:37]
	v_mov_b32_e32 v2, vcc_lo
	ds_add_u64 v0, v[2:3]
	s_trap 2
.LBB8_737:                              ;   in Loop: Header=BB8_77 Depth=1
	s_or_b64 exec, exec, s[34:35]
	s_trap 2
	ds_read_b64 v[10:11], v0
	s_waitcnt lgkmcnt(0)
	v_lshl_add_u64 v[26:27], v[26:27], 0, v[34:35]
	v_cmp_lt_u64_e32 vcc, v[10:11], v[26:27]
	s_and_saveexec_b64 s[34:35], vcc
	s_cbranch_execz .LBB8_800
; %bb.738:                              ;   in Loop: Header=BB8_77 Depth=1
	s_mov_b32 s54, 0
	s_mov_b64 s[36:37], 0
                                        ; implicit-def: $sgpr38_sgpr39
                                        ; implicit-def: $sgpr48_sgpr49
	s_branch .LBB8_740
.LBB8_739:                              ;   in Loop: Header=BB8_740 Depth=2
	s_or_b64 exec, exec, s[52:53]
	s_and_b64 vcc, exec, vcc
	s_or_b64 s[36:37], vcc, s[36:37]
	s_andn2_b64 vcc, s[38:39], exec
	s_and_b64 s[38:39], s[48:49], exec
	s_or_b64 s[38:39], vcc, s[38:39]
	s_andn2_b64 exec, exec, s[36:37]
	s_cbranch_execz .LBB8_798
.LBB8_740:                              ;   Parent Loop BB8_77 Depth=1
                                        ; =>  This Inner Loop Header: Depth=2
	s_add_i32 s54, s54, 1
	s_cmpk_lg_i32 s54, 0x2710
	s_cselect_b64 s[50:51], -1, 0
	s_and_b64 vcc, exec, s[50:51]
	s_cbranch_vccz .LBB8_742
; %bb.741:                              ;   in Loop: Header=BB8_740 Depth=2
	s_mov_b64 vcc, -1
	s_or_b64 s[48:49], s[48:49], exec
	s_and_saveexec_b64 s[52:53], s[50:51]
	s_cbranch_execz .LBB8_739
	s_branch .LBB8_743
.LBB8_742:                              ;   in Loop: Header=BB8_740 Depth=2
	s_trap 2
	ds_read_b64 v[10:11], v0
	s_andn2_b64 s[50:51], s[50:51], exec
	s_mov_b32 s54, 0
	s_waitcnt vmcnt(0) lgkmcnt(0)
	flat_load_dword v2, v[10:11] sc0 sc1
	s_waitcnt vmcnt(0) lgkmcnt(0)
	buffer_inv sc0 sc1
	v_cmp_eq_u32_e32 vcc, 0, v2
	s_and_b64 vcc, vcc, exec
	s_or_b64 s[50:51], s[50:51], vcc
	s_mov_b64 vcc, -1
	s_or_b64 s[48:49], s[48:49], exec
	s_and_saveexec_b64 s[52:53], s[50:51]
	s_cbranch_execz .LBB8_739
.LBB8_743:                              ;   in Loop: Header=BB8_740 Depth=2
	s_sleep 1
	s_trap 2
	ds_read_b64 v[10:11], v0
	s_waitcnt lgkmcnt(0)
	s_andn2_b64 s[48:49], s[48:49], exec
	v_cmp_ge_u64_e32 vcc, v[10:11], v[26:27]
	s_orn2_b64 vcc, vcc, exec
	s_branch .LBB8_739
.LBB8_744:                              ;   in Loop: Header=BB8_77 Depth=1
	s_or_b64 exec, exec, s[36:37]
	s_and_saveexec_b64 vcc, s[38:39]
	s_xor_b64 vcc, exec, vcc
	s_cbranch_execz .LBB8_746
; %bb.745:                              ;   in Loop: Header=BB8_77 Depth=1
	ds_write_b32 v0, v116
	s_trap 2
.LBB8_746:                              ;   in Loop: Header=BB8_77 Depth=1
	s_or_b64 exec, exec, s[34:35]
	;;#ASMSTART
	s_wakeup
	;;#ASMEND
.LBB8_747:                              ;   in Loop: Header=BB8_77 Depth=1
	s_or_b64 exec, exec, s[30:31]
.LBB8_748:                              ;   in Loop: Header=BB8_77 Depth=1
	s_andn2_saveexec_b64 s[94:95], s[94:95]
	s_cbranch_execz .LBB8_750
; %bb.749:                              ;   in Loop: Header=BB8_77 Depth=1
	s_waitcnt lgkmcnt(0)
	s_barrier
.LBB8_750:                              ;   in Loop: Header=BB8_77 Depth=1
	s_or_b64 exec, exec, s[94:95]
.LBB8_751:                              ;   in Loop: Header=BB8_77 Depth=1
	s_or_b64 exec, exec, s[28:29]
	s_trap 2
	ds_read_b64 v[10:11], v0
	s_waitcnt lgkmcnt(0)
	v_cmp_eq_u64_e32 vcc, 0, v[10:11]
	s_cbranch_vccnz .LBB8_786
; %bb.752:                              ;   in Loop: Header=BB8_77 Depth=1
	s_trap 2
	ds_read_b64 v[12:13], v0
	s_waitcnt lgkmcnt(0)
	v_cmp_eq_u64_e32 vcc, 0, v[12:13]
	s_cbranch_vccnz .LBB8_786
; %bb.753:                              ;   in Loop: Header=BB8_77 Depth=1
	s_mov_b64 s[28:29], -1
	s_and_saveexec_b64 s[94:95], s[22:23]
	s_cbranch_execz .LBB8_755
; %bb.754:                              ;   in Loop: Header=BB8_77 Depth=1
	ds_read_b32 v2, v0 offset:720
	s_waitcnt lgkmcnt(0)
	v_and_b32_e32 v2, 15, v2
	v_cmp_eq_u32_e32 vcc, 0, v2
	s_orn2_b64 s[28:29], vcc, exec
.LBB8_755:                              ;   in Loop: Header=BB8_77 Depth=1
	s_or_b64 exec, exec, s[94:95]
	s_and_saveexec_b64 s[94:95], s[18:19]
	s_cbranch_execz .LBB8_757
; %bb.756:                              ;   in Loop: Header=BB8_77 Depth=1
	ds_read_b32 v2, v0 offset:784
	s_waitcnt lgkmcnt(0)
	v_and_b32_e32 v2, 15, v2
	v_cmp_eq_u32_e32 vcc, 0, v2
	s_and_b64 vcc, s[28:29], vcc
	s_andn2_b64 s[28:29], s[28:29], exec
	s_and_b64 vcc, vcc, exec
	s_or_b64 s[28:29], s[28:29], vcc
.LBB8_757:                              ;   in Loop: Header=BB8_77 Depth=1
	s_or_b64 exec, exec, s[94:95]
	v_cmp_eq_u32_e32 vcc, 0, v85
	s_xor_b64 s[28:29], s[28:29], -1
	v_cndmask_b32_e64 v85, 0, 1, s[28:29]
	v_cndmask_b32_e32 v2, 0, v84, vcc
	s_mov_b64 s[30:31], -1
	v_cmp_ne_u32_e32 vcc, 0, v85
	v_mov_b32_e32 v85, 0
	v_mov_b32_e32 v96, v2
	;; [unrolled: 1-line block ×4, first 2 shown]
	s_cbranch_vccnz .LBB8_771
; %bb.758:                              ;   in Loop: Header=BB8_77 Depth=1
	v_ashrrev_i32_e32 v85, 31, v2
	v_lshrrev_b32_e32 v85, 20, v85
	v_add_u32_e32 v85, v2, v85
	v_ashrrev_i32_e32 v85, 12, v85
	v_sub_u32_e32 v99, v85, v119
	v_cmp_lt_i32_e32 vcc, 0, v99
	s_and_saveexec_b64 s[28:29], vcc
	s_cbranch_execz .LBB8_762
; %bb.759:                              ;   in Loop: Header=BB8_77 Depth=1
	s_mov_b64 s[94:95], 0
	v_mov_b64_e32 v[86:87], v[12:13]
	v_mov_b64_e32 v[96:97], v[10:11]
.LBB8_760:                              ;   Parent Loop BB8_77 Depth=1
                                        ; =>  This Inner Loop Header: Depth=2
	v_lshl_add_u64 v[112:113], v[82:83], 0, v[96:97]
	global_load_dwordx4 v[100:103], v[112:113], off nt
	global_load_dwordx4 v[42:45], v[112:113], off offset:1024 nt
	global_load_dwordx4 v[58:61], v[112:113], off offset:2048 nt
	;; [unrolled: 1-line block ×3, first 2 shown]
	v_sub_u32_e32 v99, v99, v34
	v_cmp_gt_i32_e32 vcc, 1, v99
	v_lshl_add_u64 v[112:113], v[82:83], 0, v[86:87]
	v_lshl_add_u64 v[96:97], v[96:97], 0, v[54:55]
	;; [unrolled: 1-line block ×3, first 2 shown]
	s_or_b64 s[94:95], vcc, s[94:95]
	s_waitcnt vmcnt(0)
	global_store_dwordx4 v[112:113], v[100:103], off
	global_store_dwordx4 v[112:113], v[42:45], off offset:1024
	global_store_dwordx4 v[112:113], v[58:61], off offset:2048
	;; [unrolled: 1-line block ×3, first 2 shown]
	s_andn2_b64 exec, exec, s[94:95]
	s_cbranch_execnz .LBB8_760
; %bb.761:                              ;   in Loop: Header=BB8_77 Depth=1
	s_or_b64 exec, exec, s[94:95]
.LBB8_762:                              ;   in Loop: Header=BB8_77 Depth=1
	s_or_b64 exec, exec, s[28:29]
	v_lshlrev_b32_e32 v98, 12, v85
	v_cmp_ne_u32_e32 vcc, v2, v98
	s_mov_b64 s[30:31], 0
	v_mov_b32_e32 v85, 0
                                        ; implicit-def: $vgpr96
                                        ; implicit-def: $vgpr97
                                        ; implicit-def: $vgpr86
	s_and_saveexec_b64 s[94:95], vcc
	s_cbranch_execz .LBB8_770
; %bb.763:                              ;   in Loop: Header=BB8_77 Depth=1
	v_lshlrev_b32_e32 v85, 6, v99
	v_sub_u32_e32 v85, v40, v85
	v_sub_u32_e32 v87, v2, v98
	v_ashrrev_i32_e32 v86, 31, v85
	v_lshrrev_b32_e32 v86, 26, v86
	v_ashrrev_i32_e32 v97, 31, v87
	v_add_u32_e32 v86, v85, v86
	v_lshrrev_b32_e32 v97, 22, v97
	v_ashrrev_i32_e32 v96, 6, v86
	v_and_b32_e32 v86, 0xffffffc0, v86
	v_add_u32_e32 v97, v87, v97
	v_sub_u32_e32 v99, v85, v86
	v_and_b32_e32 v100, 0xfffffc00, v97
	v_lshlrev_b32_e32 v85, 4, v99
	v_sub_u32_e32 v102, v87, v100
	v_lshl_add_u32 v86, v96, 10, v85
	v_ashrrev_i32_e32 v101, 10, v97
	v_cmp_lt_i32_e32 vcc, 15, v102
	v_sub_u32_e32 v85, v87, v86
	s_nop 0
	v_addc_co_u32_e64 v87, s[28:29], 0, v101, vcc
	v_sub_u32_e32 v101, v87, v96
	v_cmp_lt_i32_e64 s[28:29], 15, v85
	s_and_saveexec_b64 s[30:31], s[28:29]
	s_cbranch_execz .LBB8_767
; %bb.764:                              ;   in Loop: Header=BB8_77 Depth=1
	v_add_u32_e32 v86, v86, v98
	v_ashrrev_i32_e32 v87, 31, v86
	s_mov_b64 s[34:35], 0
.LBB8_765:                              ;   Parent Loop BB8_77 Depth=1
                                        ; =>  This Inner Loop Header: Depth=2
	v_lshl_add_u64 v[96:97], v[10:11], 0, v[86:87]
	global_load_dwordx4 v[42:45], v[96:97], off nt
	v_sub_u32_e32 v85, v85, v50
	v_cmp_gt_i32_e64 s[28:29], 16, v85
	v_lshl_add_u64 v[96:97], v[12:13], 0, v[86:87]
	v_sub_u32_e32 v101, v101, v34
	v_lshl_add_u64 v[86:87], v[86:87], 0, v[70:71]
	s_or_b64 s[34:35], s[28:29], s[34:35]
	s_waitcnt vmcnt(0)
	global_store_dwordx4 v[96:97], v[42:45], off
	s_andn2_b64 exec, exec, s[34:35]
	s_cbranch_execnz .LBB8_765
; %bb.766:                              ;   in Loop: Header=BB8_77 Depth=1
	s_or_b64 exec, exec, s[34:35]
.LBB8_767:                              ;   in Loop: Header=BB8_77 Depth=1
	s_or_b64 exec, exec, s[30:31]
	v_and_b32_e32 v87, 15, v2
	v_cndmask_b32_e32 v96, v102, v87, vcc
	v_mov_b32_e32 v85, 0
	v_cmp_ne_u32_e64 s[28:29], 0, v96
	s_mov_b64 s[30:31], 0
                                        ; implicit-def: $vgpr97
                                        ; implicit-def: $vgpr86
	s_and_saveexec_b64 s[34:35], s[28:29]
	s_cbranch_execz .LBB8_769
; %bb.768:                              ;   in Loop: Header=BB8_77 Depth=1
	v_sub_u32_e32 v85, v102, v87
	v_cndmask_b32_e32 v85, 0, v85, vcc
	v_cmp_lt_i32_e32 vcc, 0, v101
	s_mov_b64 s[30:31], exec
	v_add3_u32 v85, v100, v98, v85
	v_cndmask_b32_e32 v86, 0, v34, vcc
	v_sub_u32_e32 v86, v86, v101
	v_lshl_add_u32 v97, v86, 6, v99
	v_ashrrev_i32_e32 v86, 31, v97
	v_lshrrev_b32_e32 v86, 26, v86
	v_add_u32_e32 v86, v97, v86
	v_ashrrev_i32_e32 v86, 6, v86
.LBB8_769:                              ;   in Loop: Header=BB8_77 Depth=1
	s_or_b64 exec, exec, s[34:35]
	s_and_b64 s[30:31], s[30:31], exec
.LBB8_770:                              ;   in Loop: Header=BB8_77 Depth=1
	s_or_b64 exec, exec, s[94:95]
.LBB8_771:                              ;   in Loop: Header=BB8_77 Depth=1
	s_and_saveexec_b64 s[28:29], s[30:31]
	s_cbranch_execz .LBB8_780
; %bb.772:                              ;   in Loop: Header=BB8_77 Depth=1
	v_ashrrev_i32_e32 v87, 31, v96
	v_lshrrev_b32_e32 v87, 22, v87
	v_add_u32_e32 v87, v96, v87
	v_ashrrev_i32_e32 v100, 10, v87
	v_sub_u32_e32 v98, v100, v86
	v_ashrrev_i32_e32 v87, 31, v97
	v_cmp_lt_i32_e32 vcc, 0, v98
	v_lshrrev_b32_e32 v99, 26, v87
	s_and_saveexec_b64 s[94:95], vcc
	s_cbranch_execz .LBB8_776
; %bb.773:                              ;   in Loop: Header=BB8_77 Depth=1
	v_add_u32_e32 v87, v97, v99
	v_and_b32_e32 v87, 0xffffffc0, v87
	v_sub_u32_e32 v87, v97, v87
	v_lshlrev_b32_e32 v86, 10, v86
	v_add3_u32 v86, v85, v87, v86
	v_ashrrev_i32_e32 v87, 31, v86
	s_mov_b64 s[30:31], 0
.LBB8_774:                              ;   Parent Loop BB8_77 Depth=1
                                        ; =>  This Inner Loop Header: Depth=2
	v_lshl_add_u64 v[102:103], v[86:87], 0, v[10:11]
	flat_load_ubyte v101, v[102:103] nt
	flat_load_ubyte v112, v[102:103] offset:64 nt
	flat_load_ubyte v113, v[102:103] offset:128 nt
	;; [unrolled: 1-line block ×15, first 2 shown]
	v_sub_u32_e32 v98, v98, v34
	v_cmp_gt_i32_e32 vcc, 1, v98
	v_lshl_add_u64 v[102:103], v[86:87], 0, v[12:13]
	v_lshl_add_u64 v[10:11], v[10:11], 0, v[70:71]
	;; [unrolled: 1-line block ×3, first 2 shown]
	s_or_b64 s[30:31], vcc, s[30:31]
	s_waitcnt vmcnt(0) lgkmcnt(0)
	flat_store_byte v[102:103], v101 nt
	flat_store_byte v[102:103], v112 offset:64 nt
	flat_store_byte v[102:103], v113 offset:128 nt
	;; [unrolled: 1-line block ×15, first 2 shown]
	s_andn2_b64 exec, exec, s[30:31]
	s_cbranch_execnz .LBB8_774
; %bb.775:                              ;   in Loop: Header=BB8_77 Depth=1
	s_or_b64 exec, exec, s[30:31]
.LBB8_776:                              ;   in Loop: Header=BB8_77 Depth=1
	s_or_b64 exec, exec, s[94:95]
	v_lshlrev_b32_e32 v10, 10, v100
	v_cmp_ne_u32_e32 vcc, v96, v10
	s_and_b64 exec, exec, vcc
	s_cbranch_execz .LBB8_780
; %bb.777:                              ;   in Loop: Header=BB8_77 Depth=1
	v_add_u32_e32 v11, v97, v99
	v_and_b32_e32 v11, 0xffffffc0, v11
	v_sub_u32_e32 v11, v97, v11
	v_lshlrev_b32_e32 v12, 6, v98
	v_sub_u32_e32 v11, v11, v12
	v_add_u32_e32 v12, v10, v11
	v_sub_u32_e32 v86, v96, v12
	v_cmp_lt_i32_e32 vcc, 0, v86
	s_and_b64 exec, exec, vcc
	s_cbranch_execz .LBB8_780
; %bb.778:                              ;   in Loop: Header=BB8_77 Depth=1
	s_trap 2
	ds_read_b64 v[10:11], v0
	v_add_u32_e32 v12, v12, v85
	v_ashrrev_i32_e32 v13, 31, v12
	s_mov_b64 s[94:95], 0
.LBB8_779:                              ;   Parent Loop BB8_77 Depth=1
                                        ; =>  This Inner Loop Header: Depth=2
	s_waitcnt lgkmcnt(0)
	v_lshl_add_u64 v[96:97], v[10:11], 0, v[12:13]
	flat_load_ubyte v85, v[96:97] nt
	v_sub_u32_e32 v86, v86, v115
	v_cmp_gt_i32_e32 vcc, 1, v86
	v_lshl_add_u64 v[12:13], v[12:13], 0, v[68:69]
	s_or_b64 s[94:95], vcc, s[94:95]
	s_waitcnt vmcnt(0) lgkmcnt(0)
	flat_store_byte v[96:97], v85 nt
	s_andn2_b64 exec, exec, s[94:95]
	s_cbranch_execnz .LBB8_779
.LBB8_780:                              ;   in Loop: Header=BB8_77 Depth=1
	s_or_b64 exec, exec, s[28:29]
	v_cmp_lt_i32_e64 s[28:29], 0, v2
	s_and_saveexec_b64 s[94:95], s[10:11]
	s_cbranch_execnz .LBB8_787
.LBB8_781:                              ;   in Loop: Header=BB8_77 Depth=1
	s_or_b64 exec, exec, s[94:95]
                                        ; implicit-def: $vgpr2
	s_and_saveexec_b64 s[94:95], s[24:25]
	s_xor_b64 s[94:95], exec, s[94:95]
	s_cbranch_execz .LBB8_824
.LBB8_782:                              ;   in Loop: Header=BB8_77 Depth=1
	v_and_b32_e32 v10, 16, v114
	v_cmp_ne_u32_e32 vcc, 0, v10
	v_and_b32_e32 v2, 16, v114
	s_and_b64 vcc, vcc, s[28:29]
	s_and_saveexec_b64 s[28:29], vcc
	s_cbranch_execz .LBB8_784
; %bb.783:                              ;   in Loop: Header=BB8_77 Depth=1
	v_mov_b32_e32 v2, 1
	buffer_wbl2 sc1
	s_waitcnt vmcnt(0) lgkmcnt(0)
	buffer_inv sc1
.LBB8_784:                              ;   in Loop: Header=BB8_77 Depth=1
	s_or_b64 exec, exec, s[28:29]
	s_andn2_saveexec_b64 s[28:29], s[94:95]
	s_cbranch_execnz .LBB8_825
.LBB8_785:                              ;   in Loop: Header=BB8_77 Depth=1
	s_or_b64 exec, exec, s[28:29]
	v_cmp_ne_u32_e32 vcc, 0, v2
	s_and_saveexec_b64 s[28:29], vcc
	s_cbranch_execnz .LBB8_892
	s_branch .LBB8_895
.LBB8_786:                              ;   in Loop: Header=BB8_77 Depth=1
	s_mov_b64 s[28:29], 0
	s_and_saveexec_b64 s[94:95], s[10:11]
	s_cbranch_execz .LBB8_781
.LBB8_787:                              ;   in Loop: Header=BB8_77 Depth=1
	s_and_saveexec_b64 vcc, s[60:61]
	s_xor_b64 s[30:31], exec, vcc
	s_cbranch_execz .LBB8_821
; %bb.788:                              ;   in Loop: Header=BB8_77 Depth=1
	s_and_saveexec_b64 s[34:35], s[16:17]
	s_cbranch_execz .LBB8_820
; %bb.789:                              ;   in Loop: Header=BB8_77 Depth=1
	s_mov_b64 s[38:39], exec
	v_mbcnt_lo_u32_b32 v2, s38, 0
	v_mbcnt_hi_u32_b32 v2, s39, v2
	v_cmp_eq_u32_e32 vcc, 0, v2
	s_waitcnt lgkmcnt(0)
	s_and_saveexec_b64 s[36:37], vcc
	s_cbranch_execz .LBB8_791
; %bb.790:                              ;   in Loop: Header=BB8_77 Depth=1
	s_bcnt1_i32_b64 vcc_lo, s[38:39]
	v_mov_b32_e32 v2, vcc_lo
	ds_add_u64 v0, v[2:3]
	s_trap 2
.LBB8_791:                              ;   in Loop: Header=BB8_77 Depth=1
	s_or_b64 exec, exec, s[36:37]
	s_trap 2
	ds_read_b64 v[10:11], v0
	s_waitcnt lgkmcnt(0)
	v_lshl_add_u64 v[26:27], v[26:27], 0, v[34:35]
	v_cmp_lt_u64_e32 vcc, v[10:11], v[26:27]
	s_and_saveexec_b64 s[36:37], vcc
	s_cbranch_execz .LBB8_819
; %bb.792:                              ;   in Loop: Header=BB8_77 Depth=1
	s_mov_b32 s64, 0
	s_mov_b64 s[38:39], 0
                                        ; implicit-def: $sgpr48_sgpr49
                                        ; implicit-def: $sgpr50_sgpr51
	s_branch .LBB8_794
.LBB8_793:                              ;   in Loop: Header=BB8_794 Depth=2
	s_or_b64 exec, exec, s[54:55]
	s_and_b64 vcc, exec, vcc
	s_or_b64 s[38:39], vcc, s[38:39]
	s_andn2_b64 vcc, s[48:49], exec
	s_and_b64 s[48:49], s[50:51], exec
	s_or_b64 s[48:49], vcc, s[48:49]
	s_andn2_b64 exec, exec, s[38:39]
	s_cbranch_execz .LBB8_817
.LBB8_794:                              ;   Parent Loop BB8_77 Depth=1
                                        ; =>  This Inner Loop Header: Depth=2
	s_add_i32 s64, s64, 1
	s_cmpk_lg_i32 s64, 0x2710
	s_cselect_b64 s[52:53], -1, 0
	s_and_b64 vcc, exec, s[52:53]
	s_cbranch_vccz .LBB8_796
; %bb.795:                              ;   in Loop: Header=BB8_794 Depth=2
	s_mov_b64 vcc, -1
	s_or_b64 s[50:51], s[50:51], exec
	s_and_saveexec_b64 s[54:55], s[52:53]
	s_cbranch_execz .LBB8_793
	s_branch .LBB8_797
.LBB8_796:                              ;   in Loop: Header=BB8_794 Depth=2
	s_trap 2
	ds_read_b64 v[10:11], v0
	s_andn2_b64 s[52:53], s[52:53], exec
	s_mov_b32 s64, 0
	s_waitcnt vmcnt(0) lgkmcnt(0)
	flat_load_dword v2, v[10:11] sc0 sc1
	s_waitcnt vmcnt(0) lgkmcnt(0)
	buffer_inv sc0 sc1
	v_cmp_eq_u32_e32 vcc, 0, v2
	s_and_b64 vcc, vcc, exec
	s_or_b64 s[52:53], s[52:53], vcc
	s_mov_b64 vcc, -1
	s_or_b64 s[50:51], s[50:51], exec
	s_and_saveexec_b64 s[54:55], s[52:53]
	s_cbranch_execz .LBB8_793
.LBB8_797:                              ;   in Loop: Header=BB8_794 Depth=2
	s_sleep 1
	s_trap 2
	ds_read_b64 v[10:11], v0
	s_waitcnt lgkmcnt(0)
	s_andn2_b64 s[50:51], s[50:51], exec
	v_cmp_ge_u64_e32 vcc, v[10:11], v[26:27]
	s_orn2_b64 vcc, vcc, exec
	s_branch .LBB8_793
.LBB8_798:                              ;   in Loop: Header=BB8_77 Depth=1
	s_or_b64 exec, exec, s[36:37]
	s_and_saveexec_b64 vcc, s[38:39]
	s_xor_b64 vcc, exec, vcc
	s_cbranch_execz .LBB8_800
; %bb.799:                              ;   in Loop: Header=BB8_77 Depth=1
	ds_write_b32 v0, v116
	s_trap 2
.LBB8_800:                              ;   in Loop: Header=BB8_77 Depth=1
	s_or_b64 exec, exec, s[34:35]
	;;#ASMSTART
	s_wakeup
	;;#ASMEND
.LBB8_801:                              ;   in Loop: Header=BB8_77 Depth=1
	s_or_b64 exec, exec, s[30:31]
.LBB8_802:                              ;   in Loop: Header=BB8_77 Depth=1
	s_andn2_saveexec_b64 s[94:95], s[94:95]
	s_cbranch_execz .LBB8_804
; %bb.803:                              ;   in Loop: Header=BB8_77 Depth=1
	s_waitcnt lgkmcnt(0)
	s_barrier
.LBB8_804:                              ;   in Loop: Header=BB8_77 Depth=1
	s_or_b64 exec, exec, s[94:95]
	s_or_b64 exec, exec, s[92:93]
	s_and_saveexec_b64 s[92:93], s[24:25]
	s_xor_b64 s[92:93], exec, s[92:93]
	s_cbranch_execnz .LBB8_729
.LBB8_805:                              ;   in Loop: Header=BB8_77 Depth=1
	s_andn2_saveexec_b64 s[40:41], s[92:93]
	s_cbranch_execz .LBB8_843
.LBB8_806:                              ;   in Loop: Header=BB8_77 Depth=1
	s_and_saveexec_b64 s[92:93], s[60:61]
	s_xor_b64 s[92:93], exec, s[92:93]
	s_cbranch_execz .LBB8_840
; %bb.807:                              ;   in Loop: Header=BB8_77 Depth=1
	s_and_saveexec_b64 s[94:95], s[16:17]
	s_cbranch_execz .LBB8_839
; %bb.808:                              ;   in Loop: Header=BB8_77 Depth=1
	s_mov_b64 s[34:35], exec
	v_mbcnt_lo_u32_b32 v2, s34, 0
	v_mbcnt_hi_u32_b32 v2, s35, v2
	v_cmp_eq_u32_e32 vcc, 0, v2
	;;#ASMSTART
	s_waitcnt lgkmcnt(0) vmcnt(0)
	;;#ASMEND
	s_and_saveexec_b64 s[30:31], vcc
	s_cbranch_execz .LBB8_810
; %bb.809:                              ;   in Loop: Header=BB8_77 Depth=1
	s_bcnt1_i32_b64 vcc_lo, s[34:35]
	v_mov_b32_e32 v2, vcc_lo
	s_waitcnt lgkmcnt(0)
	ds_add_u64 v0, v[2:3]
	s_trap 2
.LBB8_810:                              ;   in Loop: Header=BB8_77 Depth=1
	s_or_b64 exec, exec, s[30:31]
	s_trap 2
	ds_read_b64 v[10:11], v0
	s_waitcnt lgkmcnt(0)
	v_lshl_add_u64 v[26:27], v[26:27], 0, v[34:35]
	v_cmp_lt_u64_e32 vcc, v[10:11], v[26:27]
	s_and_saveexec_b64 s[30:31], vcc
	s_cbranch_execz .LBB8_838
; %bb.811:                              ;   in Loop: Header=BB8_77 Depth=1
	s_mov_b32 s52, 0
	s_mov_b64 s[34:35], 0
                                        ; implicit-def: $sgpr36_sgpr37
                                        ; implicit-def: $sgpr38_sgpr39
	s_branch .LBB8_813
.LBB8_812:                              ;   in Loop: Header=BB8_813 Depth=2
	s_or_b64 exec, exec, s[50:51]
	s_and_b64 vcc, exec, vcc
	s_or_b64 s[34:35], vcc, s[34:35]
	s_andn2_b64 vcc, s[36:37], exec
	s_and_b64 s[36:37], s[38:39], exec
	s_or_b64 s[36:37], vcc, s[36:37]
	s_andn2_b64 exec, exec, s[34:35]
	s_cbranch_execz .LBB8_836
.LBB8_813:                              ;   Parent Loop BB8_77 Depth=1
                                        ; =>  This Inner Loop Header: Depth=2
	s_add_i32 s52, s52, 1
	s_cmpk_lg_i32 s52, 0x2710
	s_cselect_b64 s[48:49], -1, 0
	s_and_b64 vcc, exec, s[48:49]
	s_cbranch_vccz .LBB8_815
; %bb.814:                              ;   in Loop: Header=BB8_813 Depth=2
	s_mov_b64 vcc, -1
	s_or_b64 s[38:39], s[38:39], exec
	s_and_saveexec_b64 s[50:51], s[48:49]
	s_cbranch_execz .LBB8_812
	s_branch .LBB8_816
.LBB8_815:                              ;   in Loop: Header=BB8_813 Depth=2
	s_trap 2
	ds_read_b64 v[10:11], v0
	s_andn2_b64 s[48:49], s[48:49], exec
	s_mov_b32 s52, 0
	s_waitcnt vmcnt(0) lgkmcnt(0)
	flat_load_dword v2, v[10:11] sc0 sc1
	s_waitcnt vmcnt(0) lgkmcnt(0)
	buffer_inv sc0 sc1
	v_cmp_eq_u32_e32 vcc, 0, v2
	s_and_b64 vcc, vcc, exec
	s_or_b64 s[48:49], s[48:49], vcc
	s_mov_b64 vcc, -1
	s_or_b64 s[38:39], s[38:39], exec
	s_and_saveexec_b64 s[50:51], s[48:49]
	s_cbranch_execz .LBB8_812
.LBB8_816:                              ;   in Loop: Header=BB8_813 Depth=2
	s_sleep 1
	s_trap 2
	ds_read_b64 v[10:11], v0
	s_waitcnt lgkmcnt(0)
	s_andn2_b64 s[38:39], s[38:39], exec
	v_cmp_ge_u64_e32 vcc, v[10:11], v[26:27]
	s_orn2_b64 vcc, vcc, exec
	s_branch .LBB8_812
.LBB8_817:                              ;   in Loop: Header=BB8_77 Depth=1
	s_or_b64 exec, exec, s[38:39]
	s_and_saveexec_b64 vcc, s[48:49]
	s_xor_b64 vcc, exec, vcc
	s_cbranch_execz .LBB8_819
; %bb.818:                              ;   in Loop: Header=BB8_77 Depth=1
	ds_write_b32 v0, v116
	s_trap 2
.LBB8_819:                              ;   in Loop: Header=BB8_77 Depth=1
	s_or_b64 exec, exec, s[36:37]
	;;#ASMSTART
	s_wakeup
	;;#ASMEND
.LBB8_820:                              ;   in Loop: Header=BB8_77 Depth=1
	s_or_b64 exec, exec, s[34:35]
.LBB8_821:                              ;   in Loop: Header=BB8_77 Depth=1
	s_andn2_saveexec_b64 vcc, s[30:31]
	s_cbranch_execz .LBB8_823
; %bb.822:                              ;   in Loop: Header=BB8_77 Depth=1
	s_waitcnt lgkmcnt(0)
	s_barrier
.LBB8_823:                              ;   in Loop: Header=BB8_77 Depth=1
	s_or_b64 exec, exec, vcc
	s_or_b64 exec, exec, s[94:95]
                                        ; implicit-def: $vgpr2
	s_and_saveexec_b64 s[94:95], s[24:25]
	s_xor_b64 s[94:95], exec, s[94:95]
	s_cbranch_execnz .LBB8_782
.LBB8_824:                              ;   in Loop: Header=BB8_77 Depth=1
	s_andn2_saveexec_b64 s[28:29], s[94:95]
	s_cbranch_execz .LBB8_785
.LBB8_825:                              ;   in Loop: Header=BB8_77 Depth=1
	s_and_saveexec_b64 s[94:95], s[60:61]
	s_xor_b64 s[94:95], exec, s[94:95]
	s_cbranch_execz .LBB8_889
; %bb.826:                              ;   in Loop: Header=BB8_77 Depth=1
	s_and_saveexec_b64 s[30:31], s[16:17]
	s_cbranch_execz .LBB8_888
; %bb.827:                              ;   in Loop: Header=BB8_77 Depth=1
	s_mov_b64 s[36:37], exec
	v_mbcnt_lo_u32_b32 v2, s36, 0
	v_mbcnt_hi_u32_b32 v2, s37, v2
	v_cmp_eq_u32_e32 vcc, 0, v2
	;;#ASMSTART
	s_waitcnt lgkmcnt(0) vmcnt(0)
	;;#ASMEND
	s_and_saveexec_b64 s[34:35], vcc
	s_cbranch_execz .LBB8_829
; %bb.828:                              ;   in Loop: Header=BB8_77 Depth=1
	s_bcnt1_i32_b64 vcc_lo, s[36:37]
	v_mov_b32_e32 v2, vcc_lo
	s_waitcnt lgkmcnt(0)
	ds_add_u64 v0, v[2:3]
	s_trap 2
.LBB8_829:                              ;   in Loop: Header=BB8_77 Depth=1
	s_or_b64 exec, exec, s[34:35]
	s_trap 2
	ds_read_b64 v[10:11], v0
	s_waitcnt lgkmcnt(0)
	v_lshl_add_u64 v[26:27], v[26:27], 0, v[34:35]
	v_cmp_lt_u64_e32 vcc, v[10:11], v[26:27]
	s_and_saveexec_b64 s[34:35], vcc
	s_cbranch_execz .LBB8_887
; %bb.830:                              ;   in Loop: Header=BB8_77 Depth=1
	s_mov_b32 s54, 0
	s_mov_b64 s[36:37], 0
                                        ; implicit-def: $sgpr38_sgpr39
                                        ; implicit-def: $sgpr48_sgpr49
	s_branch .LBB8_832
.LBB8_831:                              ;   in Loop: Header=BB8_832 Depth=2
	s_or_b64 exec, exec, s[52:53]
	s_and_b64 vcc, exec, vcc
	s_or_b64 s[36:37], vcc, s[36:37]
	s_andn2_b64 vcc, s[38:39], exec
	s_and_b64 s[38:39], s[48:49], exec
	s_or_b64 s[38:39], vcc, s[38:39]
	s_andn2_b64 exec, exec, s[36:37]
	s_cbranch_execz .LBB8_885
.LBB8_832:                              ;   Parent Loop BB8_77 Depth=1
                                        ; =>  This Inner Loop Header: Depth=2
	s_add_i32 s54, s54, 1
	s_cmpk_lg_i32 s54, 0x2710
	s_cselect_b64 s[50:51], -1, 0
	s_and_b64 vcc, exec, s[50:51]
	s_cbranch_vccz .LBB8_834
; %bb.833:                              ;   in Loop: Header=BB8_832 Depth=2
	s_mov_b64 vcc, -1
	s_or_b64 s[48:49], s[48:49], exec
	s_and_saveexec_b64 s[52:53], s[50:51]
	s_cbranch_execz .LBB8_831
	s_branch .LBB8_835
.LBB8_834:                              ;   in Loop: Header=BB8_832 Depth=2
	s_trap 2
	ds_read_b64 v[10:11], v0
	s_andn2_b64 s[50:51], s[50:51], exec
	s_mov_b32 s54, 0
	s_waitcnt vmcnt(0) lgkmcnt(0)
	flat_load_dword v2, v[10:11] sc0 sc1
	s_waitcnt vmcnt(0) lgkmcnt(0)
	buffer_inv sc0 sc1
	v_cmp_eq_u32_e32 vcc, 0, v2
	s_and_b64 vcc, vcc, exec
	s_or_b64 s[50:51], s[50:51], vcc
	s_mov_b64 vcc, -1
	s_or_b64 s[48:49], s[48:49], exec
	s_and_saveexec_b64 s[52:53], s[50:51]
	s_cbranch_execz .LBB8_831
.LBB8_835:                              ;   in Loop: Header=BB8_832 Depth=2
	s_sleep 1
	s_trap 2
	ds_read_b64 v[10:11], v0
	s_waitcnt lgkmcnt(0)
	s_andn2_b64 s[48:49], s[48:49], exec
	v_cmp_ge_u64_e32 vcc, v[10:11], v[26:27]
	s_orn2_b64 vcc, vcc, exec
	s_branch .LBB8_831
.LBB8_836:                              ;   in Loop: Header=BB8_77 Depth=1
	s_or_b64 exec, exec, s[34:35]
	s_and_saveexec_b64 vcc, s[36:37]
	s_xor_b64 vcc, exec, vcc
	s_cbranch_execz .LBB8_838
; %bb.837:                              ;   in Loop: Header=BB8_77 Depth=1
	ds_write_b32 v0, v116
	s_trap 2
.LBB8_838:                              ;   in Loop: Header=BB8_77 Depth=1
	s_or_b64 exec, exec, s[30:31]
	;;#ASMSTART
	s_wakeup
	;;#ASMEND
.LBB8_839:                              ;   in Loop: Header=BB8_77 Depth=1
	s_or_b64 exec, exec, s[94:95]
.LBB8_840:                              ;   in Loop: Header=BB8_77 Depth=1
	s_andn2_saveexec_b64 s[92:93], s[92:93]
	s_cbranch_execz .LBB8_842
; %bb.841:                              ;   in Loop: Header=BB8_77 Depth=1
	;;#ASMSTART
	s_waitcnt lgkmcnt(0) vmcnt(0)
	;;#ASMEND
	s_barrier
.LBB8_842:                              ;   in Loop: Header=BB8_77 Depth=1
	s_or_b64 exec, exec, s[92:93]
.LBB8_843:                              ;   in Loop: Header=BB8_77 Depth=1
	s_or_b64 exec, exec, s[40:41]
	v_and_b32_e32 v2, 32, v114
	v_cmp_ne_u32_e32 vcc, 0, v2
	s_and_saveexec_b64 s[40:41], vcc
	s_cbranch_execz .LBB8_845
; %bb.844:                              ;   in Loop: Header=BB8_77 Depth=1
	v_lshl_add_u64 v[8:9], v[8:9], 0, 1
	flat_store_dwordx2 v[20:21], v[8:9] sc0 sc1
.LBB8_845:                              ;   in Loop: Header=BB8_77 Depth=1
	s_or_b64 exec, exec, s[40:41]
	v_mov_b32_e32 v85, v84
.LBB8_846:                              ;   in Loop: Header=BB8_77 Depth=1
	s_or_b64 exec, exec, s[88:89]
	s_mov_b64 s[40:41], s[42:43]
	s_and_saveexec_b64 s[88:89], s[26:27]
	s_cbranch_execz .LBB8_995
; %bb.847:                              ;   in Loop: Header=BB8_77 Depth=1
	v_and_b32_e32 v2, 4, v114
	v_cmp_ne_u32_e32 vcc, 0, v2
	s_and_saveexec_b64 s[92:93], vcc
	s_cbranch_execz .LBB8_857
; %bb.848:                              ;   in Loop: Header=BB8_77 Depth=1
	v_lshl_add_u64 v[10:11], v[8:9], 0, 1
	s_waitcnt vmcnt(0) lgkmcnt(0)
	v_cmp_lt_u64_e32 vcc, v[32:33], v[10:11]
	s_and_saveexec_b64 s[94:95], vcc
	s_cbranch_execz .LBB8_872
; %bb.849:                              ;   in Loop: Header=BB8_77 Depth=1
	v_and_b32_e32 v2, 64, v114
	s_mov_b32 s66, 0
	v_cmp_eq_u32_e32 vcc, 0, v2
	s_mov_b64 s[30:31], 0
                                        ; implicit-def: $sgpr34_sgpr35
                                        ; implicit-def: $sgpr36_sgpr37
                                        ; implicit-def: $sgpr38_sgpr39
	s_branch .LBB8_853
.LBB8_850:                              ;   in Loop: Header=BB8_853 Depth=2
	s_waitcnt vmcnt(0) lgkmcnt(0)
	v_cmp_ge_u64_e64 s[40:41], v[32:33], v[10:11]
	s_or_b64 s[52:53], s[52:53], exec
	s_orn2_b64 s[50:51], s[40:41], exec
.LBB8_851:                              ;   in Loop: Header=BB8_853 Depth=2
	s_or_b64 exec, exec, s[64:65]
	s_andn2_b64 s[40:41], s[38:39], exec
	s_and_b64 s[38:39], s[52:53], exec
	s_or_b64 s[38:39], s[40:41], s[38:39]
	s_andn2_b64 s[40:41], s[36:37], exec
	s_and_b64 s[36:37], s[50:51], exec
	s_or_b64 s[36:37], s[40:41], s[36:37]
.LBB8_852:                              ;   in Loop: Header=BB8_853 Depth=2
	s_or_b64 exec, exec, s[48:49]
	s_and_b64 s[40:41], exec, s[36:37]
	s_or_b64 s[30:31], s[40:41], s[30:31]
	s_andn2_b64 s[40:41], s[34:35], exec
	s_and_b64 s[34:35], s[38:39], exec
	s_or_b64 s[34:35], s[40:41], s[34:35]
	s_andn2_b64 exec, exec, s[30:31]
	s_cbranch_execz .LBB8_869
.LBB8_853:                              ;   Parent Loop BB8_77 Depth=1
                                        ; =>  This Inner Loop Header: Depth=2
	s_sleep 1
	s_waitcnt vmcnt(0) lgkmcnt(0)
	flat_load_dwordx2 v[32:33], v[20:21] sc0 sc1
	s_or_b64 s[38:39], s[38:39], exec
	s_or_b64 s[36:37], s[36:37], exec
                                        ; implicit-def: $vgpr2
	s_and_saveexec_b64 s[48:49], vcc
	s_cbranch_execz .LBB8_852
; %bb.854:                              ;   in Loop: Header=BB8_853 Depth=2
	s_cmpk_lt_i32 s66, 0x270f
	s_cselect_b64 s[54:55], -1, 0
	s_cmpk_gt_i32 s66, 0x270e
	s_mov_b64 s[50:51], -1
	s_cbranch_scc0 .LBB8_856
; %bb.855:                              ;   in Loop: Header=BB8_853 Depth=2
	s_trap 2
	ds_read_b64 v[12:13], v0
	s_andn2_b64 s[54:55], s[54:55], exec
	s_mov_b32 s66, 0
	s_mov_b64 s[52:53], 0
	s_waitcnt vmcnt(0) lgkmcnt(0)
	flat_load_dword v2, v[12:13] sc0 sc1
	s_waitcnt vmcnt(0) lgkmcnt(0)
	buffer_inv sc0 sc1
	v_cmp_eq_u32_e64 s[40:41], 0, v2
	s_and_b64 s[40:41], s[40:41], exec
	s_or_b64 s[54:55], s[54:55], s[40:41]
	s_and_saveexec_b64 s[64:65], s[54:55]
	s_cbranch_execz .LBB8_851
	s_branch .LBB8_850
.LBB8_856:                              ;   in Loop: Header=BB8_853 Depth=2
	s_add_i32 s66, s66, 1
	s_mov_b64 s[52:53], -1
                                        ; implicit-def: $vgpr2
	s_and_saveexec_b64 s[64:65], s[54:55]
	s_cbranch_execz .LBB8_851
	s_branch .LBB8_850
.LBB8_857:                              ;   in Loop: Header=BB8_77 Depth=1
	s_or_b64 exec, exec, s[92:93]
	s_and_saveexec_b64 s[40:41], s[10:11]
	s_cbranch_execz .LBB8_881
.LBB8_858:                              ;   in Loop: Header=BB8_77 Depth=1
	s_and_saveexec_b64 s[92:93], s[60:61]
	s_xor_b64 s[92:93], exec, s[92:93]
	s_cbranch_execz .LBB8_947
; %bb.859:                              ;   in Loop: Header=BB8_77 Depth=1
	s_and_saveexec_b64 s[94:95], s[16:17]
	s_cbranch_execz .LBB8_946
; %bb.860:                              ;   in Loop: Header=BB8_77 Depth=1
	s_mov_b64 s[34:35], exec
	v_mbcnt_lo_u32_b32 v2, s34, 0
	v_mbcnt_hi_u32_b32 v2, s35, v2
	v_cmp_eq_u32_e32 vcc, 0, v2
	s_waitcnt lgkmcnt(0)
	s_and_saveexec_b64 s[30:31], vcc
	s_cbranch_execz .LBB8_862
; %bb.861:                              ;   in Loop: Header=BB8_77 Depth=1
	s_bcnt1_i32_b64 vcc_lo, s[34:35]
	v_mov_b32_e32 v2, vcc_lo
	ds_add_u64 v0, v[2:3]
	s_trap 2
.LBB8_862:                              ;   in Loop: Header=BB8_77 Depth=1
	s_or_b64 exec, exec, s[30:31]
	s_trap 2
	ds_read_b64 v[10:11], v0
	s_waitcnt lgkmcnt(0)
	v_lshl_add_u64 v[26:27], v[26:27], 0, v[34:35]
	v_cmp_lt_u64_e32 vcc, v[10:11], v[26:27]
	s_and_saveexec_b64 s[30:31], vcc
	s_cbranch_execz .LBB8_945
; %bb.863:                              ;   in Loop: Header=BB8_77 Depth=1
	s_mov_b32 s52, 0
	s_mov_b64 s[34:35], 0
                                        ; implicit-def: $sgpr36_sgpr37
                                        ; implicit-def: $sgpr38_sgpr39
	s_branch .LBB8_865
.LBB8_864:                              ;   in Loop: Header=BB8_865 Depth=2
	s_or_b64 exec, exec, s[50:51]
	s_and_b64 vcc, exec, vcc
	s_or_b64 s[34:35], vcc, s[34:35]
	s_andn2_b64 vcc, s[36:37], exec
	s_and_b64 s[36:37], s[38:39], exec
	s_or_b64 s[36:37], vcc, s[36:37]
	s_andn2_b64 exec, exec, s[34:35]
	s_cbranch_execz .LBB8_943
.LBB8_865:                              ;   Parent Loop BB8_77 Depth=1
                                        ; =>  This Inner Loop Header: Depth=2
	s_add_i32 s52, s52, 1
	s_cmpk_lg_i32 s52, 0x2710
	s_cselect_b64 s[48:49], -1, 0
	s_and_b64 vcc, exec, s[48:49]
	s_cbranch_vccz .LBB8_867
; %bb.866:                              ;   in Loop: Header=BB8_865 Depth=2
	s_mov_b64 vcc, -1
	s_or_b64 s[38:39], s[38:39], exec
	s_and_saveexec_b64 s[50:51], s[48:49]
	s_cbranch_execz .LBB8_864
	s_branch .LBB8_868
.LBB8_867:                              ;   in Loop: Header=BB8_865 Depth=2
	s_trap 2
	ds_read_b64 v[10:11], v0
	s_andn2_b64 s[48:49], s[48:49], exec
	s_mov_b32 s52, 0
	s_waitcnt vmcnt(0) lgkmcnt(0)
	flat_load_dword v2, v[10:11] sc0 sc1
	s_waitcnt vmcnt(0) lgkmcnt(0)
	buffer_inv sc0 sc1
	v_cmp_eq_u32_e32 vcc, 0, v2
	s_and_b64 vcc, vcc, exec
	s_or_b64 s[48:49], s[48:49], vcc
	s_mov_b64 vcc, -1
	s_or_b64 s[38:39], s[38:39], exec
	s_and_saveexec_b64 s[50:51], s[48:49]
	s_cbranch_execz .LBB8_864
.LBB8_868:                              ;   in Loop: Header=BB8_865 Depth=2
	s_sleep 1
	s_trap 2
	ds_read_b64 v[10:11], v0
	s_waitcnt lgkmcnt(0)
	s_andn2_b64 s[38:39], s[38:39], exec
	v_cmp_ge_u64_e32 vcc, v[10:11], v[26:27]
	s_orn2_b64 vcc, vcc, exec
	s_branch .LBB8_864
.LBB8_869:                              ;   in Loop: Header=BB8_77 Depth=1
	s_or_b64 exec, exec, s[30:31]
	s_xor_b64 s[40:41], s[34:35], -1
	s_and_saveexec_b64 vcc, s[40:41]
	s_xor_b64 s[40:41], exec, vcc
	s_cbranch_execz .LBB8_871
; %bb.870:                              ;   in Loop: Header=BB8_77 Depth=1
	v_or_b32_e32 v114, 64, v114
	s_waitcnt lgkmcnt(0)
	ds_write_b32 v0, v2
	s_trap 2
.LBB8_871:                              ;   in Loop: Header=BB8_77 Depth=1
	s_or_b64 exec, exec, s[40:41]
.LBB8_872:                              ;   in Loop: Header=BB8_77 Depth=1
	s_or_b64 exec, exec, s[94:95]
	v_and_b32_e32 v2, 0x100, v114
	v_cmp_ne_u32_e32 vcc, 0, v2
	v_and_b32_e32 v2, 7, v8
	s_mov_b64 s[40:41], -1
	;;#ASMSTART
	s_wakeup
	;;#ASMEND
                                        ; implicit-def: $vgpr8_vgpr9
	s_and_saveexec_b64 s[94:95], vcc
	s_cbranch_execz .LBB8_876
; %bb.873:                              ;   in Loop: Header=BB8_77 Depth=1
	v_mad_u64_u32 v[12:13], s[40:41], v2, 24, v[6:7]
	flat_load_dword v8, v[12:13]
	s_waitcnt vmcnt(0) lgkmcnt(0)
	v_cmp_ne_u32_e32 vcc, 1, v8
	v_cmp_eq_u32_e64 s[40:41], 1, v8
                                        ; implicit-def: $vgpr8_vgpr9
	s_and_saveexec_b64 s[30:31], s[40:41]
	s_cbranch_execz .LBB8_875
; %bb.874:                              ;   in Loop: Header=BB8_77 Depth=1
	flat_load_dword v8, v[12:13] offset:4 sc0 sc1
	s_waitcnt vmcnt(0) lgkmcnt(0)
	v_ashrrev_i32_e32 v9, 31, v8
.LBB8_875:                              ;   in Loop: Header=BB8_77 Depth=1
	s_or_b64 exec, exec, s[30:31]
	s_orn2_b64 s[40:41], vcc, exec
.LBB8_876:                              ;   in Loop: Header=BB8_77 Depth=1
	s_or_b64 exec, exec, s[94:95]
	s_and_saveexec_b64 s[94:95], s[40:41]
; %bb.877:                              ;   in Loop: Header=BB8_77 Depth=1
	v_mad_i64_i32 v[8:9], s[40:41], v2, v22, 0
; %bb.878:                              ;   in Loop: Header=BB8_77 Depth=1
	s_or_b64 exec, exec, s[94:95]
	v_and_b32_e32 v2, 0x2000, v114
	v_lshl_add_u64 v[8:9], v[24:25], 0, v[8:9]
	v_cmp_ne_u32_e32 vcc, 0, v2
	ds_write_b64 v0, v[8:9] offset:720
	s_and_saveexec_b64 s[40:41], vcc
	s_cbranch_execz .LBB8_880
; %bb.879:                              ;   in Loop: Header=BB8_77 Depth=1
	ds_read_b64 v[8:9], v0 offset:872
	s_waitcnt lgkmcnt(0)
	v_lshl_add_u64 v[8:9], v[8:9], 0, 1
	ds_write_b64 v0, v[8:9] offset:872
.LBB8_880:                              ;   in Loop: Header=BB8_77 Depth=1
	s_or_b64 exec, exec, s[40:41]
	v_mov_b64_e32 v[8:9], v[10:11]
	s_or_b64 exec, exec, s[92:93]
	s_and_saveexec_b64 s[40:41], s[10:11]
	s_cbranch_execnz .LBB8_858
.LBB8_881:                              ;   in Loop: Header=BB8_77 Depth=1
	s_or_b64 exec, exec, s[40:41]
	s_and_saveexec_b64 s[40:41], s[24:25]
	s_xor_b64 s[40:41], exec, s[40:41]
	s_cbranch_execz .LBB8_950
.LBB8_882:                              ;   in Loop: Header=BB8_77 Depth=1
	s_trap 2
	ds_read_b32 v2, v0
	v_sub_u32_e32 v10, v41, v85
	v_min_i32_e32 v10, v84, v10
	v_cmp_lt_i32_e32 vcc, 0, v10
	s_waitcnt lgkmcnt(0)
	v_readfirstlane_b32 s92, v2
	s_cmp_eq_u32 s92, 0
	s_cselect_b64 s[92:93], -1, 0
	v_and_b32_e32 v2, 16, v114
	s_and_b64 s[92:93], vcc, s[92:93]
	v_cmp_ne_u32_e32 vcc, 0, v2
	s_and_b64 s[94:95], vcc, s[92:93]
	s_and_saveexec_b64 s[92:93], s[94:95]
	s_cbranch_execz .LBB8_884
; %bb.883:                              ;   in Loop: Header=BB8_77 Depth=1
	buffer_wbl2 sc1
	s_waitcnt vmcnt(0)
	buffer_inv sc1
.LBB8_884:                              ;   in Loop: Header=BB8_77 Depth=1
	s_or_b64 exec, exec, s[92:93]
	s_andn2_saveexec_b64 s[40:41], s[40:41]
	s_cbranch_execz .LBB8_994
	s_branch .LBB8_951
.LBB8_885:                              ;   in Loop: Header=BB8_77 Depth=1
	s_or_b64 exec, exec, s[36:37]
	s_and_saveexec_b64 vcc, s[38:39]
	s_xor_b64 vcc, exec, vcc
	s_cbranch_execz .LBB8_887
; %bb.886:                              ;   in Loop: Header=BB8_77 Depth=1
	ds_write_b32 v0, v116
	s_trap 2
.LBB8_887:                              ;   in Loop: Header=BB8_77 Depth=1
	s_or_b64 exec, exec, s[34:35]
	;;#ASMSTART
	s_wakeup
	;;#ASMEND
.LBB8_888:                              ;   in Loop: Header=BB8_77 Depth=1
	s_or_b64 exec, exec, s[30:31]
.LBB8_889:                              ;   in Loop: Header=BB8_77 Depth=1
	s_andn2_saveexec_b64 s[94:95], s[94:95]
	s_cbranch_execz .LBB8_891
; %bb.890:                              ;   in Loop: Header=BB8_77 Depth=1
	;;#ASMSTART
	s_waitcnt lgkmcnt(0) vmcnt(0)
	;;#ASMEND
	s_barrier
.LBB8_891:                              ;   in Loop: Header=BB8_77 Depth=1
	s_or_b64 exec, exec, s[94:95]
	v_and_b32_e32 v2, 16, v114
	s_or_b64 exec, exec, s[28:29]
	v_cmp_ne_u32_e32 vcc, 0, v2
	s_and_saveexec_b64 s[28:29], vcc
	s_cbranch_execz .LBB8_895
.LBB8_892:                              ;   in Loop: Header=BB8_77 Depth=1
	s_and_saveexec_b64 s[94:95], s[14:15]
	s_cbranch_execz .LBB8_894
; %bb.893:                              ;   in Loop: Header=BB8_77 Depth=1
	flat_store_dword v[28:29], v116 sc0 sc1
.LBB8_894:                              ;   in Loop: Header=BB8_77 Depth=1
	s_or_b64 exec, exec, s[94:95]
	v_lshl_add_u64 v[8:9], v[8:9], 0, 1
	flat_store_dwordx2 v[20:21], v[8:9] sc0 sc1
.LBB8_895:                              ;   in Loop: Header=BB8_77 Depth=1
	s_or_b64 exec, exec, s[28:29]
	v_mov_b32_e32 v2, v84
.LBB8_896:                              ;   in Loop: Header=BB8_77 Depth=1
	s_or_b64 exec, exec, s[92:93]
	s_mov_b64 s[92:93], s[42:43]
	s_mov_b64 s[94:95], s[40:41]
	s_and_saveexec_b64 s[28:29], s[26:27]
	s_cbranch_execz .LBB8_983
; %bb.897:                              ;   in Loop: Header=BB8_77 Depth=1
	v_sub_u32_e32 v2, v41, v2
	v_min_i32_e32 v10, v84, v2
	v_and_b32_e32 v2, 8, v114
	v_cmp_ne_u32_e32 vcc, 0, v2
	s_and_saveexec_b64 s[92:93], vcc
	s_cbranch_execz .LBB8_907
; %bb.898:                              ;   in Loop: Header=BB8_77 Depth=1
	s_waitcnt vmcnt(0) lgkmcnt(0)
	v_lshl_add_u64 v[84:85], v[32:33], 0, 8
	v_lshl_add_u64 v[12:13], v[8:9], 0, 1
	v_cmp_lt_u64_e32 vcc, v[84:85], v[12:13]
	s_and_saveexec_b64 s[94:95], vcc
	s_cbranch_execz .LBB8_923
; %bb.899:                              ;   in Loop: Header=BB8_77 Depth=1
	v_and_b32_e32 v2, 64, v114
	s_mov_b32 s66, 0
	v_cmp_eq_u32_e32 vcc, 0, v2
	s_mov_b64 s[30:31], 0
                                        ; implicit-def: $sgpr34_sgpr35
                                        ; implicit-def: $sgpr36_sgpr37
                                        ; implicit-def: $sgpr38_sgpr39
	s_branch .LBB8_903
.LBB8_900:                              ;   in Loop: Header=BB8_903 Depth=2
	s_waitcnt vmcnt(0) lgkmcnt(0)
	v_lshl_add_u64 v[84:85], v[32:33], 0, 8
	v_cmp_ge_u64_e64 s[26:27], v[84:85], v[12:13]
	s_or_b64 s[52:53], s[52:53], exec
	s_orn2_b64 s[50:51], s[26:27], exec
.LBB8_901:                              ;   in Loop: Header=BB8_903 Depth=2
	s_or_b64 exec, exec, s[64:65]
	s_andn2_b64 s[26:27], s[38:39], exec
	s_and_b64 s[38:39], s[52:53], exec
	s_or_b64 s[38:39], s[26:27], s[38:39]
	s_andn2_b64 s[26:27], s[36:37], exec
	s_and_b64 s[36:37], s[50:51], exec
	s_or_b64 s[36:37], s[26:27], s[36:37]
.LBB8_902:                              ;   in Loop: Header=BB8_903 Depth=2
	s_or_b64 exec, exec, s[48:49]
	s_and_b64 s[26:27], exec, s[36:37]
	s_or_b64 s[30:31], s[26:27], s[30:31]
	s_andn2_b64 s[26:27], s[34:35], exec
	s_and_b64 s[34:35], s[38:39], exec
	s_or_b64 s[34:35], s[26:27], s[34:35]
	s_andn2_b64 exec, exec, s[30:31]
	s_cbranch_execz .LBB8_920
.LBB8_903:                              ;   Parent Loop BB8_77 Depth=1
                                        ; =>  This Inner Loop Header: Depth=2
	s_sleep 1
	s_waitcnt vmcnt(0) lgkmcnt(0)
	flat_load_dwordx2 v[32:33], v[20:21] sc0 sc1
	s_or_b64 s[38:39], s[38:39], exec
	s_or_b64 s[36:37], s[36:37], exec
                                        ; implicit-def: $vgpr2
	s_and_saveexec_b64 s[48:49], vcc
	s_cbranch_execz .LBB8_902
; %bb.904:                              ;   in Loop: Header=BB8_903 Depth=2
	s_cmpk_lt_i32 s66, 0x270f
	s_cselect_b64 s[54:55], -1, 0
	s_cmpk_gt_i32 s66, 0x270e
	s_mov_b64 s[50:51], -1
	s_cbranch_scc0 .LBB8_906
; %bb.905:                              ;   in Loop: Header=BB8_903 Depth=2
	s_trap 2
	ds_read_b64 v[84:85], v0
	s_andn2_b64 s[54:55], s[54:55], exec
	s_mov_b32 s66, 0
	s_mov_b64 s[52:53], 0
	s_waitcnt vmcnt(0) lgkmcnt(0)
	flat_load_dword v2, v[84:85] sc0 sc1
	s_waitcnt vmcnt(0) lgkmcnt(0)
	buffer_inv sc0 sc1
	v_cmp_eq_u32_e64 s[26:27], 0, v2
	s_and_b64 s[26:27], s[26:27], exec
	s_or_b64 s[54:55], s[54:55], s[26:27]
	s_and_saveexec_b64 s[64:65], s[54:55]
	s_cbranch_execz .LBB8_901
	s_branch .LBB8_900
.LBB8_906:                              ;   in Loop: Header=BB8_903 Depth=2
	s_add_i32 s66, s66, 1
	s_mov_b64 s[52:53], -1
                                        ; implicit-def: $vgpr2
	s_and_saveexec_b64 s[64:65], s[54:55]
	s_cbranch_execz .LBB8_901
	s_branch .LBB8_900
.LBB8_907:                              ;   in Loop: Header=BB8_77 Depth=1
	s_or_b64 exec, exec, s[92:93]
	s_and_saveexec_b64 s[26:27], s[10:11]
	s_cbranch_execnz .LBB8_932
.LBB8_908:                              ;   in Loop: Header=BB8_77 Depth=1
	s_or_b64 exec, exec, s[26:27]
                                        ; implicit-def: $vgpr2
	s_and_saveexec_b64 s[26:27], s[78:79]
	s_xor_b64 s[26:27], exec, s[26:27]
	s_cbranch_execz .LBB8_976
.LBB8_909:                              ;   in Loop: Header=BB8_77 Depth=1
	s_and_saveexec_b64 s[92:93], s[60:61]
	s_xor_b64 s[92:93], exec, s[92:93]
	s_cbranch_execz .LBB8_966
; %bb.910:                              ;   in Loop: Header=BB8_77 Depth=1
	s_and_saveexec_b64 s[94:95], s[16:17]
	s_cbranch_execz .LBB8_965
; %bb.911:                              ;   in Loop: Header=BB8_77 Depth=1
	s_mov_b64 s[34:35], exec
	v_mbcnt_lo_u32_b32 v2, s34, 0
	v_mbcnt_hi_u32_b32 v2, s35, v2
	v_cmp_eq_u32_e32 vcc, 0, v2
	;;#ASMSTART
	s_waitcnt lgkmcnt(0) vmcnt(0)
	;;#ASMEND
	s_and_saveexec_b64 s[30:31], vcc
	s_cbranch_execz .LBB8_913
; %bb.912:                              ;   in Loop: Header=BB8_77 Depth=1
	s_bcnt1_i32_b64 vcc_lo, s[34:35]
	v_mov_b32_e32 v2, vcc_lo
	s_waitcnt lgkmcnt(0)
	ds_add_u64 v0, v[2:3]
	s_trap 2
.LBB8_913:                              ;   in Loop: Header=BB8_77 Depth=1
	s_or_b64 exec, exec, s[30:31]
	s_trap 2
	ds_read_b64 v[10:11], v0
	s_waitcnt lgkmcnt(0)
	v_lshl_add_u64 v[26:27], v[26:27], 0, v[34:35]
	v_cmp_lt_u64_e32 vcc, v[10:11], v[26:27]
	s_and_saveexec_b64 s[30:31], vcc
	s_cbranch_execz .LBB8_964
; %bb.914:                              ;   in Loop: Header=BB8_77 Depth=1
	s_mov_b32 s52, 0
	s_mov_b64 s[34:35], 0
                                        ; implicit-def: $sgpr36_sgpr37
                                        ; implicit-def: $sgpr38_sgpr39
	s_branch .LBB8_916
.LBB8_915:                              ;   in Loop: Header=BB8_916 Depth=2
	s_or_b64 exec, exec, s[50:51]
	s_and_b64 vcc, exec, vcc
	s_or_b64 s[34:35], vcc, s[34:35]
	s_andn2_b64 vcc, s[36:37], exec
	s_and_b64 s[36:37], s[38:39], exec
	s_or_b64 s[36:37], vcc, s[36:37]
	s_andn2_b64 exec, exec, s[34:35]
	s_cbranch_execz .LBB8_962
.LBB8_916:                              ;   Parent Loop BB8_77 Depth=1
                                        ; =>  This Inner Loop Header: Depth=2
	s_add_i32 s52, s52, 1
	s_cmpk_lg_i32 s52, 0x2710
	s_cselect_b64 s[48:49], -1, 0
	s_and_b64 vcc, exec, s[48:49]
	s_cbranch_vccz .LBB8_918
; %bb.917:                              ;   in Loop: Header=BB8_916 Depth=2
	s_mov_b64 vcc, -1
	s_or_b64 s[38:39], s[38:39], exec
	s_and_saveexec_b64 s[50:51], s[48:49]
	s_cbranch_execz .LBB8_915
	s_branch .LBB8_919
.LBB8_918:                              ;   in Loop: Header=BB8_916 Depth=2
	s_trap 2
	ds_read_b64 v[10:11], v0
	s_andn2_b64 s[48:49], s[48:49], exec
	s_mov_b32 s52, 0
	s_waitcnt vmcnt(0) lgkmcnt(0)
	flat_load_dword v2, v[10:11] sc0 sc1
	s_waitcnt vmcnt(0) lgkmcnt(0)
	buffer_inv sc0 sc1
	v_cmp_eq_u32_e32 vcc, 0, v2
	s_and_b64 vcc, vcc, exec
	s_or_b64 s[48:49], s[48:49], vcc
	s_mov_b64 vcc, -1
	s_or_b64 s[38:39], s[38:39], exec
	s_and_saveexec_b64 s[50:51], s[48:49]
	s_cbranch_execz .LBB8_915
.LBB8_919:                              ;   in Loop: Header=BB8_916 Depth=2
	s_sleep 1
	s_trap 2
	ds_read_b64 v[10:11], v0
	s_waitcnt lgkmcnt(0)
	s_andn2_b64 s[38:39], s[38:39], exec
	v_cmp_ge_u64_e32 vcc, v[10:11], v[26:27]
	s_orn2_b64 vcc, vcc, exec
	s_branch .LBB8_915
.LBB8_920:                              ;   in Loop: Header=BB8_77 Depth=1
	s_or_b64 exec, exec, s[30:31]
	s_xor_b64 s[26:27], s[34:35], -1
	s_and_saveexec_b64 vcc, s[26:27]
	s_xor_b64 s[26:27], exec, vcc
	s_cbranch_execz .LBB8_922
; %bb.921:                              ;   in Loop: Header=BB8_77 Depth=1
	v_or_b32_e32 v114, 64, v114
	s_waitcnt lgkmcnt(0)
	ds_write_b32 v0, v2
	s_trap 2
.LBB8_922:                              ;   in Loop: Header=BB8_77 Depth=1
	s_or_b64 exec, exec, s[26:27]
.LBB8_923:                              ;   in Loop: Header=BB8_77 Depth=1
	s_or_b64 exec, exec, s[94:95]
	v_and_b32_e32 v2, 0x100, v114
	v_cmp_ne_u32_e32 vcc, 0, v2
	v_and_b32_e32 v2, 7, v8
	s_mov_b64 s[26:27], -1
	;;#ASMSTART
	s_wakeup
	;;#ASMEND
                                        ; implicit-def: $vgpr8_vgpr9
	s_and_saveexec_b64 s[94:95], vcc
	s_cbranch_execz .LBB8_927
; %bb.924:                              ;   in Loop: Header=BB8_77 Depth=1
	v_mad_u64_u32 v[84:85], s[26:27], v2, 24, v[6:7]
	flat_load_dword v8, v[84:85]
	v_ashrrev_i32_e32 v11, 31, v10
	flat_store_dwordx2 v[84:85], v[10:11] offset:8
	s_waitcnt vmcnt(0) lgkmcnt(0)
	v_cmp_ne_u32_e32 vcc, 1, v8
	v_cmp_eq_u32_e64 s[26:27], 1, v8
                                        ; implicit-def: $vgpr8_vgpr9
	s_and_saveexec_b64 s[30:31], s[26:27]
	s_cbranch_execz .LBB8_926
; %bb.925:                              ;   in Loop: Header=BB8_77 Depth=1
	flat_load_dword v8, v[84:85] offset:4 sc0 sc1
	s_waitcnt vmcnt(0) lgkmcnt(0)
	v_ashrrev_i32_e32 v9, 31, v8
.LBB8_926:                              ;   in Loop: Header=BB8_77 Depth=1
	s_or_b64 exec, exec, s[30:31]
	s_orn2_b64 s[26:27], vcc, exec
.LBB8_927:                              ;   in Loop: Header=BB8_77 Depth=1
	s_or_b64 exec, exec, s[94:95]
	s_and_saveexec_b64 s[94:95], s[26:27]
; %bb.928:                              ;   in Loop: Header=BB8_77 Depth=1
	v_mad_i64_i32 v[8:9], s[26:27], v2, v22, 0
; %bb.929:                              ;   in Loop: Header=BB8_77 Depth=1
	s_or_b64 exec, exec, s[94:95]
	v_and_b32_e32 v2, 0x2000, v114
	v_lshl_add_u64 v[8:9], v[24:25], 0, v[8:9]
	v_cmp_ne_u32_e32 vcc, 0, v2
	ds_write_b64 v0, v[8:9] offset:784
	s_and_saveexec_b64 s[26:27], vcc
	s_cbranch_execz .LBB8_931
; %bb.930:                              ;   in Loop: Header=BB8_77 Depth=1
	ds_read_b64 v[8:9], v0 offset:872
	s_waitcnt lgkmcnt(0)
	v_lshl_add_u64 v[8:9], v[8:9], 0, 1
	ds_write_b64 v0, v[8:9] offset:872
.LBB8_931:                              ;   in Loop: Header=BB8_77 Depth=1
	s_or_b64 exec, exec, s[26:27]
	v_mov_b64_e32 v[8:9], v[12:13]
	s_or_b64 exec, exec, s[92:93]
	s_and_saveexec_b64 s[26:27], s[10:11]
	s_cbranch_execz .LBB8_908
.LBB8_932:                              ;   in Loop: Header=BB8_77 Depth=1
	s_and_saveexec_b64 s[92:93], s[60:61]
	s_xor_b64 s[92:93], exec, s[92:93]
	s_cbranch_execz .LBB8_973
; %bb.933:                              ;   in Loop: Header=BB8_77 Depth=1
	s_and_saveexec_b64 s[94:95], s[16:17]
	s_cbranch_execz .LBB8_972
; %bb.934:                              ;   in Loop: Header=BB8_77 Depth=1
	s_mov_b64 s[34:35], exec
	v_mbcnt_lo_u32_b32 v2, s34, 0
	v_mbcnt_hi_u32_b32 v2, s35, v2
	v_cmp_eq_u32_e32 vcc, 0, v2
	s_waitcnt lgkmcnt(0)
	s_and_saveexec_b64 s[30:31], vcc
	s_cbranch_execz .LBB8_936
; %bb.935:                              ;   in Loop: Header=BB8_77 Depth=1
	s_bcnt1_i32_b64 vcc_lo, s[34:35]
	v_mov_b32_e32 v2, vcc_lo
	ds_add_u64 v0, v[2:3]
	s_trap 2
.LBB8_936:                              ;   in Loop: Header=BB8_77 Depth=1
	s_or_b64 exec, exec, s[30:31]
	s_trap 2
	ds_read_b64 v[12:13], v0
	s_waitcnt lgkmcnt(0)
	v_lshl_add_u64 v[26:27], v[26:27], 0, v[34:35]
	v_cmp_lt_u64_e32 vcc, v[12:13], v[26:27]
	s_and_saveexec_b64 s[30:31], vcc
	s_cbranch_execz .LBB8_971
; %bb.937:                              ;   in Loop: Header=BB8_77 Depth=1
	s_mov_b32 s52, 0
	s_mov_b64 s[34:35], 0
                                        ; implicit-def: $sgpr36_sgpr37
                                        ; implicit-def: $sgpr38_sgpr39
	s_branch .LBB8_939
.LBB8_938:                              ;   in Loop: Header=BB8_939 Depth=2
	s_or_b64 exec, exec, s[50:51]
	s_and_b64 vcc, exec, vcc
	s_or_b64 s[34:35], vcc, s[34:35]
	s_andn2_b64 vcc, s[36:37], exec
	s_and_b64 s[36:37], s[38:39], exec
	s_or_b64 s[36:37], vcc, s[36:37]
	s_andn2_b64 exec, exec, s[34:35]
	s_cbranch_execz .LBB8_969
.LBB8_939:                              ;   Parent Loop BB8_77 Depth=1
                                        ; =>  This Inner Loop Header: Depth=2
	s_add_i32 s52, s52, 1
	s_cmpk_lg_i32 s52, 0x2710
	s_cselect_b64 s[48:49], -1, 0
	s_and_b64 vcc, exec, s[48:49]
	s_cbranch_vccz .LBB8_941
; %bb.940:                              ;   in Loop: Header=BB8_939 Depth=2
	s_mov_b64 vcc, -1
	s_or_b64 s[38:39], s[38:39], exec
	s_and_saveexec_b64 s[50:51], s[48:49]
	s_cbranch_execz .LBB8_938
	s_branch .LBB8_942
.LBB8_941:                              ;   in Loop: Header=BB8_939 Depth=2
	s_trap 2
	ds_read_b64 v[12:13], v0
	s_andn2_b64 s[48:49], s[48:49], exec
	s_mov_b32 s52, 0
	s_waitcnt vmcnt(0) lgkmcnt(0)
	flat_load_dword v2, v[12:13] sc0 sc1
	s_waitcnt vmcnt(0) lgkmcnt(0)
	buffer_inv sc0 sc1
	v_cmp_eq_u32_e32 vcc, 0, v2
	s_and_b64 vcc, vcc, exec
	s_or_b64 s[48:49], s[48:49], vcc
	s_mov_b64 vcc, -1
	s_or_b64 s[38:39], s[38:39], exec
	s_and_saveexec_b64 s[50:51], s[48:49]
	s_cbranch_execz .LBB8_938
.LBB8_942:                              ;   in Loop: Header=BB8_939 Depth=2
	s_sleep 1
	s_trap 2
	ds_read_b64 v[12:13], v0
	s_waitcnt lgkmcnt(0)
	s_andn2_b64 s[38:39], s[38:39], exec
	v_cmp_ge_u64_e32 vcc, v[12:13], v[26:27]
	s_orn2_b64 vcc, vcc, exec
	s_branch .LBB8_938
.LBB8_943:                              ;   in Loop: Header=BB8_77 Depth=1
	s_or_b64 exec, exec, s[34:35]
	s_and_saveexec_b64 vcc, s[36:37]
	s_xor_b64 vcc, exec, vcc
	s_cbranch_execz .LBB8_945
; %bb.944:                              ;   in Loop: Header=BB8_77 Depth=1
	ds_write_b32 v0, v116
	s_trap 2
.LBB8_945:                              ;   in Loop: Header=BB8_77 Depth=1
	s_or_b64 exec, exec, s[30:31]
	;;#ASMSTART
	s_wakeup
	;;#ASMEND
.LBB8_946:                              ;   in Loop: Header=BB8_77 Depth=1
	s_or_b64 exec, exec, s[94:95]
.LBB8_947:                              ;   in Loop: Header=BB8_77 Depth=1
	s_andn2_saveexec_b64 s[92:93], s[92:93]
	s_cbranch_execz .LBB8_949
; %bb.948:                              ;   in Loop: Header=BB8_77 Depth=1
	s_waitcnt lgkmcnt(0)
	s_barrier
.LBB8_949:                              ;   in Loop: Header=BB8_77 Depth=1
	s_or_b64 exec, exec, s[92:93]
	s_or_b64 exec, exec, s[40:41]
	s_and_saveexec_b64 s[40:41], s[24:25]
	s_xor_b64 s[40:41], exec, s[40:41]
	s_cbranch_execnz .LBB8_882
.LBB8_950:                              ;   in Loop: Header=BB8_77 Depth=1
	s_andn2_saveexec_b64 s[40:41], s[40:41]
	s_cbranch_execz .LBB8_994
.LBB8_951:                              ;   in Loop: Header=BB8_77 Depth=1
	s_and_saveexec_b64 s[92:93], s[60:61]
	s_xor_b64 s[92:93], exec, s[92:93]
	s_cbranch_execz .LBB8_991
; %bb.952:                              ;   in Loop: Header=BB8_77 Depth=1
	s_and_saveexec_b64 s[94:95], s[16:17]
	s_cbranch_execz .LBB8_990
; %bb.953:                              ;   in Loop: Header=BB8_77 Depth=1
	s_mov_b64 s[34:35], exec
	v_mbcnt_lo_u32_b32 v2, s34, 0
	v_mbcnt_hi_u32_b32 v2, s35, v2
	v_cmp_eq_u32_e32 vcc, 0, v2
	;;#ASMSTART
	s_waitcnt lgkmcnt(0) vmcnt(0)
	;;#ASMEND
	s_and_saveexec_b64 s[30:31], vcc
	s_cbranch_execz .LBB8_955
; %bb.954:                              ;   in Loop: Header=BB8_77 Depth=1
	s_bcnt1_i32_b64 vcc_lo, s[34:35]
	v_mov_b32_e32 v2, vcc_lo
	s_waitcnt lgkmcnt(0)
	ds_add_u64 v0, v[2:3]
	s_trap 2
.LBB8_955:                              ;   in Loop: Header=BB8_77 Depth=1
	s_or_b64 exec, exec, s[30:31]
	s_trap 2
	ds_read_b64 v[10:11], v0
	s_waitcnt lgkmcnt(0)
	v_lshl_add_u64 v[26:27], v[26:27], 0, v[34:35]
	v_cmp_lt_u64_e32 vcc, v[10:11], v[26:27]
	s_and_saveexec_b64 s[30:31], vcc
	s_cbranch_execz .LBB8_989
; %bb.956:                              ;   in Loop: Header=BB8_77 Depth=1
	s_mov_b32 s52, 0
	s_mov_b64 s[34:35], 0
                                        ; implicit-def: $sgpr36_sgpr37
                                        ; implicit-def: $sgpr38_sgpr39
	s_branch .LBB8_958
.LBB8_957:                              ;   in Loop: Header=BB8_958 Depth=2
	s_or_b64 exec, exec, s[50:51]
	s_and_b64 vcc, exec, vcc
	s_or_b64 s[34:35], vcc, s[34:35]
	s_andn2_b64 vcc, s[36:37], exec
	s_and_b64 s[36:37], s[38:39], exec
	s_or_b64 s[36:37], vcc, s[36:37]
	s_andn2_b64 exec, exec, s[34:35]
	s_cbranch_execz .LBB8_987
.LBB8_958:                              ;   Parent Loop BB8_77 Depth=1
                                        ; =>  This Inner Loop Header: Depth=2
	s_add_i32 s52, s52, 1
	s_cmpk_lg_i32 s52, 0x2710
	s_cselect_b64 s[48:49], -1, 0
	s_and_b64 vcc, exec, s[48:49]
	s_cbranch_vccz .LBB8_960
; %bb.959:                              ;   in Loop: Header=BB8_958 Depth=2
	s_mov_b64 vcc, -1
	s_or_b64 s[38:39], s[38:39], exec
	s_and_saveexec_b64 s[50:51], s[48:49]
	s_cbranch_execz .LBB8_957
	s_branch .LBB8_961
.LBB8_960:                              ;   in Loop: Header=BB8_958 Depth=2
	s_trap 2
	ds_read_b64 v[10:11], v0
	s_andn2_b64 s[48:49], s[48:49], exec
	s_mov_b32 s52, 0
	s_waitcnt vmcnt(0) lgkmcnt(0)
	flat_load_dword v2, v[10:11] sc0 sc1
	s_waitcnt vmcnt(0) lgkmcnt(0)
	buffer_inv sc0 sc1
	v_cmp_eq_u32_e32 vcc, 0, v2
	s_and_b64 vcc, vcc, exec
	s_or_b64 s[48:49], s[48:49], vcc
	s_mov_b64 vcc, -1
	s_or_b64 s[38:39], s[38:39], exec
	s_and_saveexec_b64 s[50:51], s[48:49]
	s_cbranch_execz .LBB8_957
.LBB8_961:                              ;   in Loop: Header=BB8_958 Depth=2
	s_sleep 1
	s_trap 2
	ds_read_b64 v[10:11], v0
	s_waitcnt lgkmcnt(0)
	s_andn2_b64 s[38:39], s[38:39], exec
	v_cmp_ge_u64_e32 vcc, v[10:11], v[26:27]
	s_orn2_b64 vcc, vcc, exec
	s_branch .LBB8_957
.LBB8_962:                              ;   in Loop: Header=BB8_77 Depth=1
	s_or_b64 exec, exec, s[34:35]
	s_and_saveexec_b64 vcc, s[36:37]
	s_xor_b64 vcc, exec, vcc
	s_cbranch_execz .LBB8_964
; %bb.963:                              ;   in Loop: Header=BB8_77 Depth=1
	ds_write_b32 v0, v116
	s_trap 2
.LBB8_964:                              ;   in Loop: Header=BB8_77 Depth=1
	s_or_b64 exec, exec, s[30:31]
	;;#ASMSTART
	s_wakeup
	;;#ASMEND
.LBB8_965:                              ;   in Loop: Header=BB8_77 Depth=1
	s_or_b64 exec, exec, s[94:95]
.LBB8_966:                              ;   in Loop: Header=BB8_77 Depth=1
	s_andn2_saveexec_b64 s[92:93], s[92:93]
	s_cbranch_execz .LBB8_968
; %bb.967:                              ;   in Loop: Header=BB8_77 Depth=1
	;;#ASMSTART
	s_waitcnt lgkmcnt(0) vmcnt(0)
	;;#ASMEND
	s_barrier
.LBB8_968:                              ;   in Loop: Header=BB8_77 Depth=1
	s_or_b64 exec, exec, s[92:93]
	v_and_b32_e32 v2, 16, v114
                                        ; implicit-def: $vgpr10
	s_andn2_saveexec_b64 s[26:27], s[26:27]
	s_cbranch_execz .LBB8_980
	s_branch .LBB8_977
.LBB8_969:                              ;   in Loop: Header=BB8_77 Depth=1
	s_or_b64 exec, exec, s[34:35]
	s_and_saveexec_b64 vcc, s[36:37]
	s_xor_b64 vcc, exec, vcc
	s_cbranch_execz .LBB8_971
; %bb.970:                              ;   in Loop: Header=BB8_77 Depth=1
	ds_write_b32 v0, v116
	s_trap 2
.LBB8_971:                              ;   in Loop: Header=BB8_77 Depth=1
	s_or_b64 exec, exec, s[30:31]
	;;#ASMSTART
	s_wakeup
	;;#ASMEND
.LBB8_972:                              ;   in Loop: Header=BB8_77 Depth=1
	s_or_b64 exec, exec, s[94:95]
.LBB8_973:                              ;   in Loop: Header=BB8_77 Depth=1
	s_andn2_saveexec_b64 s[92:93], s[92:93]
	s_cbranch_execz .LBB8_975
; %bb.974:                              ;   in Loop: Header=BB8_77 Depth=1
	s_waitcnt lgkmcnt(0)
	s_barrier
.LBB8_975:                              ;   in Loop: Header=BB8_77 Depth=1
	s_or_b64 exec, exec, s[92:93]
	s_or_b64 exec, exec, s[26:27]
                                        ; implicit-def: $vgpr2
	s_and_saveexec_b64 s[26:27], s[78:79]
	s_xor_b64 s[26:27], exec, s[26:27]
	s_cbranch_execnz .LBB8_909
.LBB8_976:                              ;   in Loop: Header=BB8_77 Depth=1
	s_andn2_saveexec_b64 s[26:27], s[26:27]
	s_cbranch_execz .LBB8_980
.LBB8_977:                              ;   in Loop: Header=BB8_77 Depth=1
	s_trap 2
	ds_read_b32 v11, v0
	v_cmp_lt_i32_e32 vcc, 0, v10
	v_and_b32_e32 v10, 16, v114
	v_and_b32_e32 v2, 16, v114
	s_waitcnt lgkmcnt(0)
	v_readfirstlane_b32 s92, v11
	s_cmp_eq_u32 s92, 0
	s_cselect_b64 s[92:93], -1, 0
	s_and_b64 s[92:93], vcc, s[92:93]
	v_cmp_ne_u32_e32 vcc, 0, v10
	s_and_b64 s[94:95], vcc, s[92:93]
	s_and_saveexec_b64 s[92:93], s[94:95]
	s_cbranch_execz .LBB8_979
; %bb.978:                              ;   in Loop: Header=BB8_77 Depth=1
	v_mov_b32_e32 v2, 1
	buffer_wbl2 sc1
	s_waitcnt vmcnt(0)
	buffer_inv sc1
.LBB8_979:                              ;   in Loop: Header=BB8_77 Depth=1
	s_or_b64 exec, exec, s[92:93]
.LBB8_980:                              ;   in Loop: Header=BB8_77 Depth=1
	s_or_b64 exec, exec, s[26:27]
	v_cmp_ne_u32_e32 vcc, 0, v2
	s_mov_b64 s[26:27], s[42:43]
	s_mov_b64 s[92:93], s[40:41]
	s_and_saveexec_b64 s[94:95], vcc
; %bb.981:                              ;   in Loop: Header=BB8_77 Depth=1
	s_andn2_b64 s[26:27], s[40:41], exec
	s_and_b64 s[92:93], s[12:13], exec
	s_or_b64 s[92:93], s[26:27], s[92:93]
	s_andn2_b64 s[26:27], s[42:43], exec
	s_and_b64 vcc, s[14:15], exec
	s_or_b64 s[26:27], s[26:27], vcc
; %bb.982:                              ;   in Loop: Header=BB8_77 Depth=1
	s_or_b64 exec, exec, s[94:95]
	s_andn2_b64 s[94:95], s[40:41], exec
	s_and_b64 s[92:93], s[92:93], exec
	s_or_b64 s[94:95], s[94:95], s[92:93]
	s_andn2_b64 s[92:93], s[42:43], exec
	s_and_b64 s[26:27], s[26:27], exec
	s_or_b64 s[92:93], s[92:93], s[26:27]
.LBB8_983:                              ;   in Loop: Header=BB8_77 Depth=1
	s_or_b64 exec, exec, s[28:29]
	s_andn2_b64 s[26:27], s[40:41], exec
	s_and_b64 s[28:29], s[94:95], exec
	s_or_b64 s[40:41], s[26:27], s[28:29]
	s_andn2_b64 s[26:27], s[42:43], exec
	s_and_b64 s[28:29], s[92:93], exec
	s_or_b64 s[42:43], s[26:27], s[28:29]
.LBB8_984:                              ;   in Loop: Header=BB8_77 Depth=1
	s_or_b64 exec, exec, s[44:45]
	s_and_saveexec_b64 s[26:27], s[42:43]
	s_cbranch_execz .LBB8_986
; %bb.985:                              ;   in Loop: Header=BB8_77 Depth=1
	s_or_b64 s[40:41], s[40:41], exec
	flat_store_dword v[28:29], v116 sc0 sc1
.LBB8_986:                              ;   in Loop: Header=BB8_77 Depth=1
	s_or_b64 exec, exec, s[26:27]
	s_andn2_b64 s[26:27], s[88:89], exec
	s_and_b64 s[28:29], s[40:41], exec
	s_or_b64 s[88:89], s[26:27], s[28:29]
	s_or_b64 exec, exec, s[90:91]
	s_and_saveexec_b64 s[26:27], s[88:89]
	s_cbranch_execz .LBB8_76
	s_branch .LBB8_998
.LBB8_987:                              ;   in Loop: Header=BB8_77 Depth=1
	s_or_b64 exec, exec, s[34:35]
	s_and_saveexec_b64 vcc, s[36:37]
	s_xor_b64 vcc, exec, vcc
	s_cbranch_execz .LBB8_989
; %bb.988:                              ;   in Loop: Header=BB8_77 Depth=1
	ds_write_b32 v0, v116
	s_trap 2
.LBB8_989:                              ;   in Loop: Header=BB8_77 Depth=1
	s_or_b64 exec, exec, s[30:31]
	;;#ASMSTART
	s_wakeup
	;;#ASMEND
.LBB8_990:                              ;   in Loop: Header=BB8_77 Depth=1
	s_or_b64 exec, exec, s[94:95]
.LBB8_991:                              ;   in Loop: Header=BB8_77 Depth=1
	s_andn2_saveexec_b64 s[92:93], s[92:93]
	s_cbranch_execz .LBB8_993
; %bb.992:                              ;   in Loop: Header=BB8_77 Depth=1
	;;#ASMSTART
	s_waitcnt lgkmcnt(0) vmcnt(0)
	;;#ASMEND
	s_barrier
.LBB8_993:                              ;   in Loop: Header=BB8_77 Depth=1
	s_or_b64 exec, exec, s[92:93]
.LBB8_994:                              ;   in Loop: Header=BB8_77 Depth=1
	s_or_b64 exec, exec, s[40:41]
	v_and_b32_e32 v2, 32, v114
	v_cmp_ne_u32_e32 vcc, 0, v2
	s_andn2_b64 s[40:41], s[42:43], exec
	s_and_b64 s[92:93], vcc, exec
	s_or_b64 s[40:41], s[40:41], s[92:93]
.LBB8_995:                              ;   in Loop: Header=BB8_77 Depth=1
	s_or_b64 exec, exec, s[88:89]
	s_andn2_b64 s[42:43], s[42:43], exec
	s_and_b64 s[40:41], s[40:41], exec
	s_or_b64 s[42:43], s[42:43], s[40:41]
.LBB8_996:                              ;   in Loop: Header=BB8_77 Depth=1
	s_or_b64 exec, exec, s[44:45]
	s_and_b64 s[88:89], s[42:43], exec
                                        ; implicit-def: $vgpr84
                                        ; implicit-def: $vgpr41
                                        ; implicit-def: $vgpr10_vgpr11
	s_andn2_saveexec_b64 s[90:91], s[90:91]
	s_cbranch_execnz .LBB8_86
.LBB8_997:                              ;   in Loop: Header=BB8_77 Depth=1
	s_or_b64 exec, exec, s[90:91]
	s_and_saveexec_b64 s[26:27], s[88:89]
	s_cbranch_execz .LBB8_76
.LBB8_998:                              ;   in Loop: Header=BB8_77 Depth=1
	v_lshl_add_u64 v[8:9], v[8:9], 0, 1
	flat_store_dwordx2 v[20:21], v[8:9] sc0 sc1
	s_branch .LBB8_76
.LBB8_999:
	s_or_b64 exec, exec, s[72:73]
.LBB8_1000:
	s_or_b64 exec, exec, s[58:59]
	v_and_b32_e32 v0, 0x800, v114
	v_cmp_eq_u32_e32 vcc, 0, v0
	s_and_saveexec_b64 s[2:3], vcc
	s_cbranch_execz .LBB8_1033
; %bb.1001:
	v_and_b32_e32 v0, 48, v114
	v_cmp_ne_u32_e32 vcc, 0, v0
	s_and_saveexec_b64 s[0:1], vcc
	s_cbranch_execz .LBB8_1003
; %bb.1002:
	s_waitcnt lgkmcnt(0)
	flat_store_dwordx2 v[18:19], v[8:9] offset:104
.LBB8_1003:
	s_or_b64 exec, exec, s[0:1]
	s_movk_i32 s0, 0x88
	v_and_b32_e32 v0, 0x88, v114
	v_cmp_eq_u32_e32 vcc, s0, v0
	s_and_saveexec_b64 s[4:5], vcc
	s_cbranch_execz .LBB8_1013
; %bb.1004:
	s_waitcnt lgkmcnt(0)
	v_add_u32_e32 v0, -1, v8
	v_and_b32_e32 v0, 7, v0
	v_mad_u64_u32 v[0:1], s[0:1], v0, 24, v[6:7]
	flat_load_dwordx2 v[2:3], v[0:1] offset:8 sc0 sc1
	s_waitcnt vmcnt(0)
	v_and_b32_e32 v4, 64, v114
	v_cmp_eq_u32_e64 s[0:1], 0, v4
	s_mov_b32 s18, 0
	s_waitcnt lgkmcnt(0)
	v_cmp_ne_u64_e32 vcc, -1, v[2:3]
	s_and_b64 s[0:1], vcc, s[0:1]
	s_and_b64 exec, exec, s[0:1]
	s_cbranch_execz .LBB8_1013
; %bb.1005:
	s_mov_b64 s[0:1], 0
                                        ; implicit-def: $sgpr6_sgpr7
                                        ; implicit-def: $sgpr10_sgpr11
	s_branch .LBB8_1008
.LBB8_1006:                             ;   in Loop: Header=BB8_1008 Depth=1
	flat_load_dwordx2 v[4:5], v[0:1] offset:8 sc0 sc1
	s_waitcnt vmcnt(0)
	s_andn2_b64 s[10:11], s[10:11], exec
	s_waitcnt lgkmcnt(0)
	v_cmp_eq_u64_e32 vcc, -1, v[4:5]
	s_orn2_b64 s[14:15], vcc, exec
.LBB8_1007:                             ;   in Loop: Header=BB8_1008 Depth=1
	s_or_b64 exec, exec, s[16:17]
	s_and_b64 s[12:13], exec, s[14:15]
	s_or_b64 s[0:1], s[12:13], s[0:1]
	s_andn2_b64 s[6:7], s[6:7], exec
	s_and_b64 s[12:13], s[10:11], exec
	s_or_b64 s[6:7], s[6:7], s[12:13]
	s_andn2_b64 exec, exec, s[0:1]
	s_cbranch_execz .LBB8_1011
.LBB8_1008:                             ; =>This Inner Loop Header: Depth=1
	s_cmpk_lt_i32 s18, 0x270f
	s_cselect_b64 s[12:13], -1, 0
	s_and_b64 vcc, exec, s[12:13]
	s_cbranch_vccnz .LBB8_1010
; %bb.1009:                             ;   in Loop: Header=BB8_1008 Depth=1
	s_trap 2
	ds_read_b64 v[2:3], v0
	s_andn2_b64 s[12:13], s[12:13], exec
	s_mov_b32 s18, 0
	s_waitcnt lgkmcnt(0)
	flat_load_dword v2, v[2:3] sc0 sc1
	s_waitcnt vmcnt(0) lgkmcnt(0)
	buffer_inv sc0 sc1
	v_cmp_eq_u32_e32 vcc, 0, v2
	s_and_b64 s[14:15], vcc, exec
	s_or_b64 s[12:13], s[12:13], s[14:15]
	s_mov_b64 s[14:15], -1
	s_or_b64 s[10:11], s[10:11], exec
	s_and_saveexec_b64 s[16:17], s[12:13]
	s_cbranch_execz .LBB8_1007
	s_branch .LBB8_1006
.LBB8_1010:                             ;   in Loop: Header=BB8_1008 Depth=1
	s_add_i32 s18, s18, 1
                                        ; implicit-def: $vgpr2
	s_mov_b64 s[14:15], -1
	s_or_b64 s[10:11], s[10:11], exec
	s_and_saveexec_b64 s[16:17], s[12:13]
	s_cbranch_execz .LBB8_1007
	s_branch .LBB8_1006
.LBB8_1011:
	s_or_b64 exec, exec, s[0:1]
	s_and_saveexec_b64 s[0:1], s[6:7]
	s_xor_b64 s[0:1], exec, s[0:1]
	s_cbranch_execz .LBB8_1013
; %bb.1012:
	ds_write_b32 v0, v2
	s_trap 2
.LBB8_1013:
	s_or_b64 exec, exec, s[4:5]
	v_and_b32_e32 v0, 0x2000, v114
	v_cmp_ne_u32_e32 vcc, 0, v0
	s_and_saveexec_b64 s[0:1], vcc
	s_cbranch_execz .LBB8_1015
; %bb.1014:
	ds_read_b64 v[0:1], v0 offset:872
	s_waitcnt lgkmcnt(0)
	flat_store_dwordx2 v[16:17], v[0:1] offset:16
.LBB8_1015:
	s_or_b64 exec, exec, s[0:1]
	v_cmp_ne_u32_e32 vcc, 64, v23
	s_and_b64 exec, exec, vcc
	s_cbranch_execz .LBB8_1033
; %bb.1016:
	v_cmp_ne_u32_sdwa s[0:1], v23, v30 src0_sel:DWORD src1_sel:WORD_0
	s_and_saveexec_b64 s[4:5], s[0:1]
	s_xor_b64 s[0:1], exec, s[4:5]
	s_cbranch_execz .LBB8_1031
; %bb.1017:
	v_and_b32_e32 v0, 63, v31
	v_cmp_eq_u32_e32 vcc, 0, v0
	s_and_saveexec_b64 s[4:5], vcc
	s_cbranch_execz .LBB8_1030
; %bb.1018:
	s_mov_b64 s[10:11], exec
	v_mbcnt_lo_u32_b32 v0, s10, 0
	v_mbcnt_hi_u32_b32 v0, s11, v0
	v_cmp_eq_u32_e32 vcc, 0, v0
	s_waitcnt lgkmcnt(0)
	s_and_saveexec_b64 s[6:7], vcc
	s_cbranch_execz .LBB8_1020
; %bb.1019:
	s_bcnt1_i32_b64 s10, s[10:11]
	v_mov_b32_e32 v0, s10
	v_mov_b32_e32 v1, 0
	ds_add_u64 v0, v[0:1]
	s_trap 2
.LBB8_1020:
	s_or_b64 exec, exec, s[6:7]
	s_trap 2
	ds_read_b64 v[2:3], v0
	s_waitcnt lgkmcnt(0)
	v_lshrrev_b32_e32 v0, 6, v23
	v_mov_b32_e32 v1, 0
	v_lshl_add_u64 v[0:1], v[26:27], 0, v[0:1]
	v_cmp_lt_u64_e32 vcc, v[2:3], v[0:1]
	s_and_saveexec_b64 s[6:7], vcc
	s_cbranch_execz .LBB8_1029
; %bb.1021:
	s_mov_b32 s22, 0
	s_mov_b64 s[10:11], 0
                                        ; implicit-def: $sgpr12_sgpr13
                                        ; implicit-def: $sgpr14_sgpr15
	s_branch .LBB8_1023
.LBB8_1022:                             ;   in Loop: Header=BB8_1023 Depth=1
	s_or_b64 exec, exec, s[18:19]
	s_and_b64 s[16:17], exec, s[20:21]
	s_or_b64 s[10:11], s[16:17], s[10:11]
	s_andn2_b64 s[12:13], s[12:13], exec
	s_and_b64 s[16:17], s[14:15], exec
	s_or_b64 s[12:13], s[12:13], s[16:17]
	s_andn2_b64 exec, exec, s[10:11]
	s_cbranch_execz .LBB8_1027
.LBB8_1023:                             ; =>This Inner Loop Header: Depth=1
	s_add_i32 s22, s22, 1
	s_cmpk_lg_i32 s22, 0x2710
	s_cselect_b64 s[16:17], -1, 0
	s_and_b64 vcc, exec, s[16:17]
	s_cbranch_vccz .LBB8_1025
; %bb.1024:                             ;   in Loop: Header=BB8_1023 Depth=1
	s_mov_b64 s[20:21], -1
	s_or_b64 s[14:15], s[14:15], exec
	s_and_saveexec_b64 s[18:19], s[16:17]
	s_cbranch_execz .LBB8_1022
	s_branch .LBB8_1026
.LBB8_1025:                             ;   in Loop: Header=BB8_1023 Depth=1
	s_trap 2
	ds_read_b64 v[2:3], v0
	s_andn2_b64 s[16:17], s[16:17], exec
	s_mov_b32 s22, 0
	s_waitcnt vmcnt(0) lgkmcnt(0)
	flat_load_dword v2, v[2:3] sc0 sc1
	s_waitcnt vmcnt(0) lgkmcnt(0)
	buffer_inv sc0 sc1
	v_cmp_eq_u32_e32 vcc, 0, v2
	s_and_b64 s[18:19], vcc, exec
	s_or_b64 s[16:17], s[16:17], s[18:19]
	s_mov_b64 s[20:21], -1
	s_or_b64 s[14:15], s[14:15], exec
	s_and_saveexec_b64 s[18:19], s[16:17]
	s_cbranch_execz .LBB8_1022
.LBB8_1026:                             ;   in Loop: Header=BB8_1023 Depth=1
	s_sleep 1
	s_trap 2
	ds_read_b64 v[2:3], v0
	s_waitcnt lgkmcnt(0)
	s_andn2_b64 s[14:15], s[14:15], exec
	v_cmp_ge_u64_e32 vcc, v[2:3], v[0:1]
	s_orn2_b64 s[20:21], vcc, exec
	s_branch .LBB8_1022
.LBB8_1027:
	s_or_b64 exec, exec, s[10:11]
	s_and_saveexec_b64 s[10:11], s[12:13]
	s_xor_b64 s[10:11], exec, s[10:11]
	s_cbranch_execz .LBB8_1029
; %bb.1028:
	v_mov_b32_e32 v0, 1
	ds_write_b32 v0, v0
	s_trap 2
.LBB8_1029:
	s_or_b64 exec, exec, s[6:7]
	;;#ASMSTART
	s_wakeup
	;;#ASMEND
.LBB8_1030:
	s_or_b64 exec, exec, s[4:5]
.LBB8_1031:
	s_andn2_saveexec_b64 s[0:1], s[0:1]
	s_cbranch_execz .LBB8_1033
; %bb.1032:
	s_waitcnt lgkmcnt(0)
	s_barrier
.LBB8_1033:
	s_or_b64 exec, exec, s[2:3]
.LBB8_1034:
	s_andn2_saveexec_b64 s[22:23], s[56:57]
	s_cbranch_execz .LBB8_1036
; %bb.1035:
	s_getpc_b64 s[0:1]
	s_add_u32 s0, s0, __PRETTY_FUNCTION__._ZN10PrimitivesIa7FuncSumIaE12FanSymmetricILi1EELi0E11ProtoSimpleILi1ELi1ELi0ELi2ELi0ELi0EELi0ELb0ELi0ELi0ELi0EEC2EiiPKiS8_PKvPvmhhhP15ncclDevWorkCollP14ncclDevWorkP2pii@rel32@lo+4
	s_addc_u32 s1, s1, __PRETTY_FUNCTION__._ZN10PrimitivesIa7FuncSumIaE12FanSymmetricILi1EELi0E11ProtoSimpleILi1ELi1ELi0ELi2ELi0ELi0EELi0ELb0ELi0ELi0ELi0EEC2EiiPKiS8_PKvPvmhhhP15ncclDevWorkCollP14ncclDevWorkP2pii@rel32@hi+12
	s_getpc_b64 s[2:3]
	s_add_u32 s2, s2, __assert_fail@rel32@lo+4
	s_addc_u32 s3, s3, __assert_fail@rel32@hi+12
	v_mov_b32_e32 v0, s0
	v_mov_b32_e32 v1, s1
	s_swappc_b64 s[30:31], s[2:3]
	; divergent unreachable
.LBB8_1036:
	s_or_b64 exec, exec, s[22:23]
.LBB8_1037:
	s_or_b64 exec, exec, s[46:47]
	scratch_load_dword v76, off, s33        ; 4-byte Folded Reload
	scratch_load_dword v75, off, s33 offset:4 ; 4-byte Folded Reload
	scratch_load_dword v74, off, s33 offset:8 ; 4-byte Folded Reload
	;; [unrolled: 1-line block ×20, first 2 shown]
	v_readlane_b32 s30, v77, 22
	v_readlane_b32 s31, v77, 23
	;; [unrolled: 1-line block ×24, first 2 shown]
	s_mov_b32 s32, s33
	v_readlane_b32 s0, v77, 24
	s_or_saveexec_b64 s[2:3], -1
	scratch_load_dword v77, off, s33 offset:84 ; 4-byte Folded Reload
	s_mov_b64 exec, s[2:3]
	s_mov_b32 s33, s0
	s_waitcnt vmcnt(0) lgkmcnt(0)
	s_setpc_b64 s[30:31]
.Lfunc_end8:
	.size	_ZN12_GLOBAL__N_17runRingIa7FuncSumIaE11ProtoSimpleILi1ELi1ELi0ELi2ELi0ELi0EELi0ELi2ELi0EEEviiP15ncclDevWorkColl, .Lfunc_end8-_ZN12_GLOBAL__N_17runRingIa7FuncSumIaE11ProtoSimpleILi1ELi1ELi0ELi2ELi0ELi0EELi0ELi2ELi0EEEviiP15ncclDevWorkColl
                                        ; -- End function
	.set .L_ZN12_GLOBAL__N_17runRingIa7FuncSumIaE11ProtoSimpleILi1ELi1ELi0ELi2ELi0ELi0EELi0ELi2ELi0EEEviiP15ncclDevWorkColl.num_vgpr, max(120, .L__assert_fail.num_vgpr)
	.set .L_ZN12_GLOBAL__N_17runRingIa7FuncSumIaE11ProtoSimpleILi1ELi1ELi0ELi2ELi0ELi0EELi0ELi2ELi0EEEviiP15ncclDevWorkColl.num_agpr, max(0, .L__assert_fail.num_agpr)
	.set .L_ZN12_GLOBAL__N_17runRingIa7FuncSumIaE11ProtoSimpleILi1ELi1ELi0ELi2ELi0ELi0EELi0ELi2ELi0EEEviiP15ncclDevWorkColl.numbered_sgpr, max(96, .L__assert_fail.numbered_sgpr)
	.set .L_ZN12_GLOBAL__N_17runRingIa7FuncSumIaE11ProtoSimpleILi1ELi1ELi0ELi2ELi0ELi0EELi0ELi2ELi0EEEviiP15ncclDevWorkColl.num_named_barrier, max(0, .L__assert_fail.num_named_barrier)
	.set .L_ZN12_GLOBAL__N_17runRingIa7FuncSumIaE11ProtoSimpleILi1ELi1ELi0ELi2ELi0ELi0EELi0ELi2ELi0EEEviiP15ncclDevWorkColl.private_seg_size, 96+max(.L__assert_fail.private_seg_size)
	.set .L_ZN12_GLOBAL__N_17runRingIa7FuncSumIaE11ProtoSimpleILi1ELi1ELi0ELi2ELi0ELi0EELi0ELi2ELi0EEEviiP15ncclDevWorkColl.uses_vcc, or(1, .L__assert_fail.uses_vcc)
	.set .L_ZN12_GLOBAL__N_17runRingIa7FuncSumIaE11ProtoSimpleILi1ELi1ELi0ELi2ELi0ELi0EELi0ELi2ELi0EEEviiP15ncclDevWorkColl.uses_flat_scratch, or(0, .L__assert_fail.uses_flat_scratch)
	.set .L_ZN12_GLOBAL__N_17runRingIa7FuncSumIaE11ProtoSimpleILi1ELi1ELi0ELi2ELi0ELi0EELi0ELi2ELi0EEEviiP15ncclDevWorkColl.has_dyn_sized_stack, or(0, .L__assert_fail.has_dyn_sized_stack)
	.set .L_ZN12_GLOBAL__N_17runRingIa7FuncSumIaE11ProtoSimpleILi1ELi1ELi0ELi2ELi0ELi0EELi0ELi2ELi0EEEviiP15ncclDevWorkColl.has_recursion, or(1, .L__assert_fail.has_recursion)
	.set .L_ZN12_GLOBAL__N_17runRingIa7FuncSumIaE11ProtoSimpleILi1ELi1ELi0ELi2ELi0ELi0EELi0ELi2ELi0EEEviiP15ncclDevWorkColl.has_indirect_call, or(0, .L__assert_fail.has_indirect_call)
	.section	.AMDGPU.csdata,"",@progbits
; Function info:
; codeLenInByte = 30668
; TotalNumSgprs: 102
; NumVgprs: 120
; NumAgprs: 0
; TotalNumVgprs: 120
; ScratchSize: 160
; MemoryBound: 1
	.text
	.p2align	2                               ; -- Begin function _Z46ncclDevFunc_Broadcast_RING_SIMPLE_Sum_i8_0_0_2v
	.type	_Z46ncclDevFunc_Broadcast_RING_SIMPLE_Sum_i8_0_0_2v,@function
_Z46ncclDevFunc_Broadcast_RING_SIMPLE_Sum_i8_0_0_2v: ; @_Z46ncclDevFunc_Broadcast_RING_SIMPLE_Sum_i8_0_0_2v
; %bb.0:
	s_waitcnt vmcnt(0) expcnt(0) lgkmcnt(0)
	s_mov_b32 s0, s33
	s_mov_b32 s33, s32
	s_or_saveexec_b64 s[2:3], -1
	scratch_store_dword off, v43, s33 offset:16 ; 4-byte Folded Spill
	s_mov_b64 exec, s[2:3]
	v_writelane_b32 v43, s0, 30
	s_add_i32 s32, s32, 32
	scratch_store_dword off, v40, s33 offset:12 ; 4-byte Folded Spill
	scratch_store_dword off, v41, s33 offset:8 ; 4-byte Folded Spill
	;; [unrolled: 1-line block ×3, first 2 shown]
	scratch_store_dword off, v77, s33       ; 4-byte Folded Spill
	v_writelane_b32 v43, s34, 0
	v_writelane_b32 v43, s35, 1
	;; [unrolled: 1-line block ×29, first 2 shown]
	s_nop 1
	v_writelane_b32 v43, s31, 29
	s_trap 2
	ds_read_b32 v0, v0
	v_mov_b32_e32 v40, v31
	s_mov_b32 s82, s12
	s_mov_b64 s[80:81], s[8:9]
	s_waitcnt lgkmcnt(0)
	v_cmp_gt_i32_e32 vcc, 1, v0
	s_cbranch_vccnz .LBB9_8
; %bb.1:
	s_mov_b32 s83, 0
	v_and_b32_e32 v41, 0x3ff, v40
	v_mov_b32_e32 v42, 6
	s_branch .LBB9_3
.LBB9_2:                                ;   in Loop: Header=BB9_3 Depth=1
	s_or_b64 exec, exec, s[84:85]
	s_trap 2
	ds_read_b32 v0, v0
	s_add_i32 s83, s83, 1
	s_waitcnt lgkmcnt(0)
	v_cmp_lt_i32_e32 vcc, s83, v0
	s_cbranch_vccz .LBB9_8
.LBB9_3:                                ; =>This Inner Loop Header: Depth=1
	s_trap 2
	ds_read_b32 v0, v0
	s_cmp_eq_u32 s83, 0
	s_cbranch_scc1 .LBB9_6
; %bb.4:                                ;   in Loop: Header=BB9_3 Depth=1
	s_trap 2
	s_waitcnt lgkmcnt(0)
	ds_read_b32 v1, v0
	s_waitcnt lgkmcnt(0)
	v_xor_b32_e32 v1, v1, v0
	v_and_b32_e32 v1, 0xff0000, v1
	v_cmp_eq_u32_e32 vcc, 0, v1
	s_cbranch_vccnz .LBB9_6
; %bb.5:                                ;   in Loop: Header=BB9_3 Depth=1
	s_barrier
	ds_read_b32 v0, v0
.LBB9_6:                                ;   in Loop: Header=BB9_3 Depth=1
	s_waitcnt lgkmcnt(0)
	v_lshlrev_b32_sdwa v1, v42, v0 dst_sel:DWORD dst_unused:UNUSED_PAD src0_sel:DWORD src1_sel:BYTE_2
	v_cmp_lt_u32_e32 vcc, v41, v1
	s_and_saveexec_b64 s[84:85], vcc
	s_cbranch_execz .LBB9_2
; %bb.7:                                ;   in Loop: Header=BB9_3 Depth=1
	s_mov_b64 s[0:1], src_shared_base
	s_getpc_b64 s[2:3]
	s_add_u32 s2, s2, _ZN12_GLOBAL__N_17runRingIa7FuncSumIaE11ProtoSimpleILi1ELi1ELi0ELi2ELi0ELi0EELi0ELi2ELi0EEEviiP15ncclDevWorkColl@rel32@lo+4
	s_addc_u32 s3, s3, _ZN12_GLOBAL__N_17runRingIa7FuncSumIaE11ProtoSimpleILi1ELi1ELi0ELi2ELi0ELi0EELi0ELi2ELi0EEEviiP15ncclDevWorkColl@rel32@hi+12
	s_mov_b64 s[8:9], s[80:81]
	s_mov_b32 s12, s82
	v_mov_b32_e32 v31, v40
	v_mov_b32_e32 v0, v41
	;; [unrolled: 1-line block ×3, first 2 shown]
	s_swappc_b64 s[30:31], s[2:3]
	s_branch .LBB9_2
.LBB9_8:
	scratch_load_dword v77, off, s33        ; 4-byte Folded Reload
	scratch_load_dword v42, off, s33 offset:4 ; 4-byte Folded Reload
	scratch_load_dword v41, off, s33 offset:8 ; 4-byte Folded Reload
	;; [unrolled: 1-line block ×3, first 2 shown]
	v_readlane_b32 s30, v43, 28
	v_readlane_b32 s31, v43, 29
	;; [unrolled: 1-line block ×30, first 2 shown]
	s_mov_b32 s32, s33
	v_readlane_b32 s0, v43, 30
	s_or_saveexec_b64 s[2:3], -1
	scratch_load_dword v43, off, s33 offset:16 ; 4-byte Folded Reload
	s_mov_b64 exec, s[2:3]
	s_mov_b32 s33, s0
	s_waitcnt vmcnt(0)
	s_setpc_b64 s[30:31]
.Lfunc_end9:
	.size	_Z46ncclDevFunc_Broadcast_RING_SIMPLE_Sum_i8_0_0_2v, .Lfunc_end9-_Z46ncclDevFunc_Broadcast_RING_SIMPLE_Sum_i8_0_0_2v
                                        ; -- End function
	.set .L_Z46ncclDevFunc_Broadcast_RING_SIMPLE_Sum_i8_0_0_2v.num_vgpr, max(78, .L_ZN12_GLOBAL__N_17runRingIa7FuncSumIaE11ProtoSimpleILi1ELi1ELi0ELi2ELi0ELi0EELi0ELi2ELi0EEEviiP15ncclDevWorkColl.num_vgpr)
	.set .L_Z46ncclDevFunc_Broadcast_RING_SIMPLE_Sum_i8_0_0_2v.num_agpr, max(0, .L_ZN12_GLOBAL__N_17runRingIa7FuncSumIaE11ProtoSimpleILi1ELi1ELi0ELi2ELi0ELi0EELi0ELi2ELi0EEEviiP15ncclDevWorkColl.num_agpr)
	.set .L_Z46ncclDevFunc_Broadcast_RING_SIMPLE_Sum_i8_0_0_2v.numbered_sgpr, max(86, .L_ZN12_GLOBAL__N_17runRingIa7FuncSumIaE11ProtoSimpleILi1ELi1ELi0ELi2ELi0ELi0EELi0ELi2ELi0EEEviiP15ncclDevWorkColl.numbered_sgpr)
	.set .L_Z46ncclDevFunc_Broadcast_RING_SIMPLE_Sum_i8_0_0_2v.num_named_barrier, max(0, .L_ZN12_GLOBAL__N_17runRingIa7FuncSumIaE11ProtoSimpleILi1ELi1ELi0ELi2ELi0ELi0EELi0ELi2ELi0EEEviiP15ncclDevWorkColl.num_named_barrier)
	.set .L_Z46ncclDevFunc_Broadcast_RING_SIMPLE_Sum_i8_0_0_2v.private_seg_size, 32+max(.L_ZN12_GLOBAL__N_17runRingIa7FuncSumIaE11ProtoSimpleILi1ELi1ELi0ELi2ELi0ELi0EELi0ELi2ELi0EEEviiP15ncclDevWorkColl.private_seg_size)
	.set .L_Z46ncclDevFunc_Broadcast_RING_SIMPLE_Sum_i8_0_0_2v.uses_vcc, or(1, .L_ZN12_GLOBAL__N_17runRingIa7FuncSumIaE11ProtoSimpleILi1ELi1ELi0ELi2ELi0ELi0EELi0ELi2ELi0EEEviiP15ncclDevWorkColl.uses_vcc)
	.set .L_Z46ncclDevFunc_Broadcast_RING_SIMPLE_Sum_i8_0_0_2v.uses_flat_scratch, or(0, .L_ZN12_GLOBAL__N_17runRingIa7FuncSumIaE11ProtoSimpleILi1ELi1ELi0ELi2ELi0ELi0EELi0ELi2ELi0EEEviiP15ncclDevWorkColl.uses_flat_scratch)
	.set .L_Z46ncclDevFunc_Broadcast_RING_SIMPLE_Sum_i8_0_0_2v.has_dyn_sized_stack, or(0, .L_ZN12_GLOBAL__N_17runRingIa7FuncSumIaE11ProtoSimpleILi1ELi1ELi0ELi2ELi0ELi0EELi0ELi2ELi0EEEviiP15ncclDevWorkColl.has_dyn_sized_stack)
	.set .L_Z46ncclDevFunc_Broadcast_RING_SIMPLE_Sum_i8_0_0_2v.has_recursion, or(1, .L_ZN12_GLOBAL__N_17runRingIa7FuncSumIaE11ProtoSimpleILi1ELi1ELi0ELi2ELi0ELi0EELi0ELi2ELi0EEEviiP15ncclDevWorkColl.has_recursion)
	.set .L_Z46ncclDevFunc_Broadcast_RING_SIMPLE_Sum_i8_0_0_2v.has_indirect_call, or(0, .L_ZN12_GLOBAL__N_17runRingIa7FuncSumIaE11ProtoSimpleILi1ELi1ELi0ELi2ELi0ELi0EELi0ELi2ELi0EEEviiP15ncclDevWorkColl.has_indirect_call)
	.section	.AMDGPU.csdata,"",@progbits
; Function info:
; codeLenInByte = 864
; TotalNumSgprs: 102
; NumVgprs: 120
; NumAgprs: 0
; TotalNumVgprs: 120
; ScratchSize: 192
; MemoryBound: 0
	.text
	.p2align	2                               ; -- Begin function _ZN12_GLOBAL__N_17runRingIa7FuncSumIaE7ProtoLLLi0ELi4ELi0EEEviiP15ncclDevWorkColl
	.type	_ZN12_GLOBAL__N_17runRingIa7FuncSumIaE7ProtoLLLi0ELi4ELi0EEEviiP15ncclDevWorkColl,@function
_ZN12_GLOBAL__N_17runRingIa7FuncSumIaE7ProtoLLLi0ELi4ELi0EEEviiP15ncclDevWorkColl: ; @_ZN12_GLOBAL__N_17runRingIa7FuncSumIaE7ProtoLLLi0ELi4ELi0EEEviiP15ncclDevWorkColl
; %bb.0:
	s_waitcnt vmcnt(0) expcnt(0) lgkmcnt(0)
	scratch_store_dword off, v40, s32 offset:4 ; 4-byte Folded Spill
	scratch_store_dword off, v41, s32       ; 4-byte Folded Spill
	s_trap 2
	ds_read_b64 v[4:5], v0
	flat_load_ushort v9, v[2:3] offset:8
	flat_load_dwordx2 v[16:17], v[2:3]
	ds_read_b32 v6, v0
                                        ; implicit-def: $vgpr48_vgpr49
                                        ; implicit-def: $vgpr14_vgpr15
	s_waitcnt lgkmcnt(0)
	flat_load_dwordx2 v[54:55], v[4:5]
                                        ; implicit-def: $vgpr4_vgpr5
	s_waitcnt vmcnt(0)
	v_mov_b32_e32 v8, v17
	v_cmp_ne_u32_sdwa s[0:1], v6, v16 src0_sel:DWORD src1_sel:BYTE_0
	s_and_saveexec_b64 s[2:3], s[0:1]
	s_xor_b64 s[0:1], exec, s[2:3]
	s_cbranch_execz .LBB10_6
; %bb.1:
	v_not_b32_sdwa v10, v16 dst_sel:DWORD dst_unused:UNUSED_PAD src0_sel:BYTE_0
	v_cmp_ne_u32_sdwa s[2:3], v6, v16 src0_sel:DWORD src1_sel:BYTE_1
                                        ; implicit-def: $vgpr48_vgpr49
                                        ; implicit-def: $vgpr4_vgpr5
                                        ; implicit-def: $vgpr14_vgpr15
	s_and_saveexec_b64 s[4:5], s[2:3]
	s_xor_b64 s[2:3], exec, s[4:5]
	s_cbranch_execz .LBB10_3
; %bb.2:
	flat_load_dwordx4 v[18:21], v[2:3] offset:72
	flat_load_dwordx2 v[4:5], v[2:3] offset:96
	v_add_u32_e32 v6, v6, v10
	v_ashrrev_i32_e32 v7, 31, v6
                                        ; implicit-def: $vgpr10
	s_waitcnt vmcnt(0) lgkmcnt(0)
	v_mul_lo_u32 v7, v20, v7
	v_mad_u64_u32 v[14:15], s[4:5], v20, v6, v[18:19]
	v_mul_lo_u32 v6, v21, v6
	v_lshrrev_b64 v[48:49], 21, v[4:5]
	v_add3_u32 v15, v6, v15, v7
	v_mov_b64_e32 v[4:5], v[20:21]
.LBB10_3:
	s_andn2_saveexec_b64 s[2:3], s[2:3]
	s_cbranch_execz .LBB10_5
; %bb.4:
	flat_load_dwordx4 v[18:21], v[2:3] offset:72
	flat_load_dwordx4 v[4:7], v[2:3] offset:88
	s_waitcnt vmcnt(0) lgkmcnt(0)
	v_add_u32_sdwa v6, v16, v10 dst_sel:DWORD dst_unused:UNUSED_PAD src0_sel:BYTE_1 src1_sel:DWORD
	v_ashrrev_i32_e32 v10, 31, v6
	v_mul_lo_u32 v10, v20, v10
	v_mad_u64_u32 v[14:15], s[4:5], v20, v6, v[18:19]
	v_mul_lo_u32 v6, v21, v6
	v_add3_u32 v15, v6, v15, v10
	v_lshrrev_b32_e32 v48, 10, v7
.LBB10_5:
	s_or_b64 exec, exec, s[2:3]
.LBB10_6:
	s_andn2_saveexec_b64 s[0:1], s[0:1]
	s_cbranch_execz .LBB10_8
; %bb.7:
	flat_load_dwordx2 v[4:5], v[2:3] offset:72
	flat_load_dwordx2 v[48:49], v[2:3] offset:96
	v_mov_b64_e32 v[14:15], 0
.LBB10_8:
	s_or_b64 exec, exec, s[0:1]
	flat_load_dwordx4 v[10:13], v[2:3] offset:16
	s_brev_b32 s0, 34
	v_and_b32_e32 v2, 0x44000000, v16
	v_cmp_eq_u32_e64 s[16:17], s0, v2
	v_bfe_u32 v3, v8, 1, 30
	s_nop 0
	v_cndmask_b32_e64 v2, v1, 64, s[16:17]
	v_cmp_ge_i32_e32 vcc, v0, v2
	s_and_saveexec_b64 s[0:1], vcc
	s_xor_b64 s[2:3], exec, s[0:1]
	s_cbranch_execnz .LBB10_11
; %bb.9:
	s_andn2_saveexec_b64 s[18:19], s[2:3]
	s_cbranch_execnz .LBB10_40
.LBB10_10:
	s_or_b64 exec, exec, s[18:19]
	scratch_load_dword v41, off, s32        ; 4-byte Folded Reload
	scratch_load_dword v40, off, s32 offset:4 ; 4-byte Folded Reload
	s_waitcnt vmcnt(0) lgkmcnt(0)
	s_setpc_b64 s[30:31]
.LBB10_11:
	s_waitcnt vmcnt(0) lgkmcnt(0)
	v_cmp_ne_u64_e32 vcc, v[12:13], v[10:11]
	v_cmp_eq_u32_e64 s[0:1], v54, v3
	s_and_b64 s[0:1], vcc, s[0:1]
	s_and_saveexec_b64 s[4:5], s[0:1]
	s_cbranch_execz .LBB10_39
; %bb.12:
	v_sub_u32_e32 v25, v0, v2
	v_ashrrev_i16_e32 v0, 15, v25
	v_lshrrev_b16_e32 v0, 10, v0
	v_add_u16_e32 v0, v25, v0
	v_and_b32_e32 v3, 0xffffffc0, v0
	v_sub_u16_e32 v22, v25, v3
	v_lshl_add_u64 v[6:7], v[12:13], 0, v[14:15]
	v_lshl_add_u64 v[8:9], v[10:11], 0, v[14:15]
	v_cmp_gt_i16_e32 vcc, 1, v22
	s_mov_b64 s[0:1], 0
	s_and_saveexec_b64 s[6:7], vcc
; %bb.13:
	v_bitop3_b32 v3, v6, 15, v8 bitop3:0xc8
	v_cmp_ne_u32_e32 vcc, 0, v3
	s_and_b64 s[0:1], vcc, exec
; %bb.14:
	s_or_b64 exec, exec, s[6:7]
	v_sub_u32_e32 v24, v1, v2
	v_cndmask_b32_e64 v1, 0, 1, s[0:1]
	v_cmp_ne_u32_e32 vcc, 0, v1
	s_cbranch_vccz .LBB10_16
; %bb.15:
	s_mov_b64 s[6:7], -1
	v_mov_b64_e32 v[0:1], 0
	s_and_b64 exec, exec, s[6:7]
	s_cbranch_execnz .LBB10_31
	s_branch .LBB10_39
.LBB10_16:
	v_ashrrev_i16_e32 v2, 6, v0
	v_ashrrev_i32_e32 v0, 31, v5
	v_lshrrev_b32_e32 v0, 19, v0
	v_mov_b32_e32 v1, 0
	v_lshl_add_u64 v[0:1], v[4:5], 0, v[0:1]
	v_ashrrev_i64 v[0:1], 13, v[0:1]
	v_bfe_i32 v16, v2, 0, 16
	v_ashrrev_i32_e32 v3, 31, v16
	v_sub_co_u32_e32 v2, vcc, v0, v16
	s_mov_b64 s[10:11], 0
	s_nop 0
	v_subb_co_u32_e32 v3, vcc, v1, v3, vcc
	v_cmp_lt_i64_e32 vcc, 0, v[2:3]
	s_and_saveexec_b64 s[6:7], vcc
	s_cbranch_execz .LBB10_20
; %bb.17:
	v_ashrrev_i16_e32 v18, 15, v24
	v_lshrrev_b16_e32 v18, 10, v18
	v_mov_b32_e32 v17, 4
	v_add_u16_e32 v18, v24, v18
	v_lshlrev_b32_sdwa v17, v17, sext(v22) dst_sel:DWORD dst_unused:UNUSED_PAD src0_sel:DWORD src1_sel:WORD_0
	v_ashrrev_i16_e32 v19, 6, v18
	v_mov_b32_e32 v20, 13
	v_lshl_add_u32 v16, v16, 13, v17
	v_bfe_i32 v18, v19, 0, 16
	v_lshlrev_b32_sdwa v20, v20, sext(v19) dst_sel:DWORD dst_unused:UNUSED_PAD src0_sel:DWORD src1_sel:WORD_0
	v_ashrrev_i32_e32 v17, 31, v16
	v_ashrrev_i32_e32 v19, 31, v18
	;; [unrolled: 1-line block ×3, first 2 shown]
.LBB10_18:                              ; =>This Inner Loop Header: Depth=1
	v_lshl_add_u64 v[38:39], v[16:17], 0, v[6:7]
	global_load_dwordx4 v[26:29], v[38:39], off nt
	global_load_dwordx4 v[30:33], v[38:39], off offset:1024 nt
	global_load_dwordx4 v[34:37], v[38:39], off offset:2048 nt
	;; [unrolled: 1-line block ×3, first 2 shown]
	v_add_co_u32_e32 v38, vcc, 0x1000, v38
	v_lshl_add_u64 v[6:7], v[6:7], 0, v[20:21]
	s_nop 0
	v_addc_co_u32_e32 v39, vcc, 0, v39, vcc
	global_load_dwordx4 v[52:55], v[38:39], off nt
	global_load_dwordx4 v[64:67], v[38:39], off offset:1024 nt
	global_load_dwordx4 v[68:71], v[38:39], off offset:2048 nt
	;; [unrolled: 1-line block ×3, first 2 shown]
	v_sub_co_u32_e32 v2, vcc, v2, v18
	v_lshl_add_u64 v[38:39], v[16:17], 0, v[8:9]
	s_nop 0
	v_subb_co_u32_e32 v3, vcc, v3, v19, vcc
	v_cmp_gt_i64_e64 s[0:1], 1, v[2:3]
	v_lshl_add_u64 v[8:9], v[8:9], 0, v[20:21]
	v_add_co_u32_e32 v84, vcc, 0x1000, v38
	s_or_b64 s[10:11], s[0:1], s[10:11]
	s_nop 0
	v_addc_co_u32_e32 v85, vcc, 0, v39, vcc
	s_waitcnt vmcnt(7)
	global_store_dwordx4 v[38:39], v[26:29], off
	s_waitcnt vmcnt(7)
	global_store_dwordx4 v[38:39], v[30:33], off offset:1024
	s_waitcnt vmcnt(7)
	global_store_dwordx4 v[38:39], v[34:37], off offset:2048
	;; [unrolled: 2-line block ×3, first 2 shown]
	s_waitcnt vmcnt(7)
	global_store_dwordx4 v[84:85], v[52:55], off
	s_waitcnt vmcnt(7)
	global_store_dwordx4 v[84:85], v[64:67], off offset:1024
	s_waitcnt vmcnt(7)
	global_store_dwordx4 v[84:85], v[68:71], off offset:2048
	;; [unrolled: 2-line block ×3, first 2 shown]
	s_andn2_b64 exec, exec, s[10:11]
	s_cbranch_execnz .LBB10_18
; %bb.19:
	s_or_b64 exec, exec, s[10:11]
.LBB10_20:
	s_or_b64 exec, exec, s[6:7]
	v_lshlrev_b64 v[8:9], 13, v[0:1]
	v_cmp_ne_u64_e32 vcc, v[4:5], v[8:9]
	s_mov_b64 s[6:7], 0
	v_mov_b64_e32 v[0:1], 0
                                        ; implicit-def: $vgpr6_vgpr7
                                        ; implicit-def: $vgpr25
	s_and_saveexec_b64 s[0:1], vcc
	s_cbranch_execz .LBB10_30
; %bb.21:
	v_sub_co_u32_e32 v16, vcc, v4, v8
	v_mov_b32_e32 v21, 0
	s_nop 0
	v_subb_co_u32_e32 v17, vcc, v5, v9, vcc
	v_ashrrev_i32_e32 v0, 31, v17
	v_lshrrev_b32_e32 v20, 22, v0
	v_lshl_add_u64 v[6:7], v[16:17], 0, v[20:21]
	v_ashrrev_i64 v[18:19], 10, v[6:7]
	v_and_b32_e32 v6, 0xfffffc00, v6
	v_lshl_add_u64 v[0:1], v[6:7], 0, v[8:9]
	v_sub_co_u32_e32 v6, vcc, v16, v6
	s_nop 1
	v_subb_co_u32_e32 v7, vcc, v17, v7, vcc
	v_cmp_lt_i64_e32 vcc, 15, v[6:7]
	s_and_saveexec_b64 s[6:7], vcc
; %bb.22:
	v_and_b32_e32 v20, 15, v4
	v_sub_co_u32_e32 v4, vcc, v6, v20
	v_lshl_add_u64 v[18:19], v[18:19], 0, 1
	s_nop 0
	v_subbrev_co_u32_e32 v5, vcc, 0, v7, vcc
	v_lshl_add_u64 v[0:1], v[4:5], 0, v[0:1]
	v_mov_b64_e32 v[6:7], v[20:21]
; %bb.23:
	s_or_b64 exec, exec, s[6:7]
	v_lshlrev_b32_e32 v2, 6, v2
	v_sub_u32_sdwa v2, sext(v22), v2 dst_sel:DWORD dst_unused:UNUSED_PAD src0_sel:WORD_0 src1_sel:DWORD
	v_ashrrev_i32_e32 v3, 31, v2
	v_lshrrev_b32_e32 v3, 26, v3
	v_add_u32_e32 v3, v2, v3
	v_ashrrev_i32_e32 v23, 6, v3
	v_and_b32_e32 v3, 0xffffffc0, v3
	v_sub_u32_e32 v22, v2, v3
	v_lshlrev_b32_e32 v2, 4, v22
	v_lshl_add_u32 v20, v23, 10, v2
	v_ashrrev_i32_e32 v21, 31, v20
	v_sub_co_u32_e32 v4, vcc, v16, v20
	v_ashrrev_i32_e32 v3, 31, v23
	s_nop 0
	v_subb_co_u32_e32 v5, vcc, v17, v21, vcc
	v_sub_co_u32_e32 v2, vcc, v18, v23
	s_nop 1
	v_subb_co_u32_e32 v3, vcc, v19, v3, vcc
	v_cmp_lt_i64_e32 vcc, 15, v[4:5]
	s_and_saveexec_b64 s[6:7], vcc
	s_cbranch_execz .LBB10_27
; %bb.24:
	v_ashrrev_i16_e32 v16, 15, v24
	v_lshrrev_b16_e32 v16, 10, v16
	v_add_u16_e32 v16, v24, v16
	v_ashrrev_i16_e32 v17, 6, v16
	v_mov_b32_e32 v18, 10
	v_bfe_i32 v16, v17, 0, 16
	v_lshlrev_b32_sdwa v18, v18, sext(v17) dst_sel:DWORD dst_unused:UNUSED_PAD src0_sel:DWORD src1_sel:WORD_0
	v_lshl_add_u64 v[8:9], v[14:15], 0, v[8:9]
	v_ashrrev_i32_e32 v19, 31, v18
	v_ashrrev_i32_e32 v17, 31, v16
	v_lshl_add_u64 v[8:9], v[8:9], 0, v[20:21]
	s_mov_b64 s[10:11], 0
.LBB10_25:                              ; =>This Inner Loop Header: Depth=1
	v_lshl_add_u64 v[20:21], v[12:13], 0, v[8:9]
	global_load_dwordx4 v[26:29], v[20:21], off nt
	v_sub_co_u32_e32 v4, vcc, v4, v18
	v_lshl_add_u64 v[20:21], v[10:11], 0, v[8:9]
	s_nop 0
	v_subb_co_u32_e32 v5, vcc, v5, v19, vcc
	v_sub_co_u32_e32 v2, vcc, v2, v16
	v_lshl_add_u64 v[8:9], v[8:9], 0, v[18:19]
	s_nop 0
	v_subb_co_u32_e32 v3, vcc, v3, v17, vcc
	v_cmp_gt_i64_e32 vcc, 16, v[4:5]
	s_or_b64 s[10:11], vcc, s[10:11]
	s_waitcnt vmcnt(0)
	global_store_dwordx4 v[20:21], v[26:29], off
	s_andn2_b64 exec, exec, s[10:11]
	s_cbranch_execnz .LBB10_25
; %bb.26:
	s_or_b64 exec, exec, s[10:11]
.LBB10_27:
	s_or_b64 exec, exec, s[6:7]
	v_cmp_lt_i64_e32 vcc, 0, v[2:3]
	s_and_saveexec_b64 s[6:7], vcc
; %bb.28:
	v_ashrrev_i16_e32 v3, 15, v24
	v_lshrrev_b16_e32 v3, 10, v3
	v_add_u16_e32 v3, v24, v3
	v_ashrrev_i16_e32 v3, 6, v3
	v_bfe_i32 v3, v3, 0, 16
	v_sub_co_u32_e32 v2, vcc, v2, v3
; %bb.29:
	s_or_b64 exec, exec, s[6:7]
	v_lshlrev_b32_e32 v2, 6, v2
	v_cmp_ne_u64_e32 vcc, 0, v[6:7]
	v_sub_u32_e32 v25, v22, v2
	s_and_b64 s[6:7], vcc, exec
.LBB10_30:
	s_or_b64 exec, exec, s[0:1]
	v_mov_b64_e32 v[4:5], v[6:7]
	s_and_b64 exec, exec, s[6:7]
	s_cbranch_execz .LBB10_39
.LBB10_31:
	v_ashrrev_i32_e32 v2, 31, v25
	v_lshrrev_b32_e32 v2, 26, v2
	v_add_u32_e32 v8, v25, v2
	v_ashrrev_i32_e32 v2, 31, v5
	v_lshrrev_b32_e32 v2, 21, v2
	v_mov_b32_e32 v3, 0
	v_lshl_add_u64 v[2:3], v[4:5], 0, v[2:3]
	v_ashrrev_i32_e32 v26, 6, v8
	v_ashrrev_i64 v[6:7], 11, v[2:3]
	v_ashrrev_i32_e32 v3, 31, v26
	v_sub_co_u32_e32 v2, vcc, v6, v26
	s_mov_b64 s[6:7], 0
	s_nop 0
	v_subb_co_u32_e32 v3, vcc, v7, v3, vcc
	v_cmp_lt_i64_e32 vcc, 0, v[2:3]
	s_and_saveexec_b64 s[0:1], vcc
	s_cbranch_execz .LBB10_35
; %bb.32:
	v_ashrrev_i16_e32 v16, 15, v24
	v_lshrrev_b16_e32 v16, 10, v16
	v_and_b32_e32 v8, 0xffffffc0, v8
	v_add_u16_e32 v16, v24, v16
	v_sub_u32_e32 v8, v25, v8
	v_ashrrev_i16_e32 v17, 6, v16
	v_mov_b32_e32 v18, 11
	v_lshl_add_u32 v8, v26, 11, v8
	v_bfe_i32 v16, v17, 0, 16
	v_lshlrev_b32_sdwa v18, v18, sext(v17) dst_sel:DWORD dst_unused:UNUSED_PAD src0_sel:DWORD src1_sel:WORD_0
	v_lshl_add_u64 v[22:23], v[14:15], 0, v[0:1]
	v_ashrrev_i32_e32 v9, 31, v8
	v_ashrrev_i32_e32 v17, 31, v16
	v_ashrrev_i32_e32 v19, 31, v18
	v_lshl_add_u64 v[20:21], v[22:23], 0, v[12:13]
	v_lshl_add_u64 v[22:23], v[22:23], 0, v[10:11]
.LBB10_33:                              ; =>This Inner Loop Header: Depth=1
	v_lshl_add_u64 v[28:29], v[8:9], 0, v[20:21]
	flat_load_ubyte v27, v[28:29] nt
	flat_load_ubyte v30, v[28:29] offset:64 nt
	flat_load_ubyte v31, v[28:29] offset:128 nt
	;; [unrolled: 1-line block ×31, first 2 shown]
	v_sub_co_u32_e32 v2, vcc, v2, v16
	v_lshl_add_u64 v[28:29], v[8:9], 0, v[22:23]
	s_nop 0
	v_subb_co_u32_e32 v3, vcc, v3, v17, vcc
	v_cmp_gt_i64_e32 vcc, 1, v[2:3]
	v_lshl_add_u64 v[20:21], v[20:21], 0, v[18:19]
	v_lshl_add_u64 v[22:23], v[22:23], 0, v[18:19]
	s_or_b64 s[6:7], vcc, s[6:7]
	s_waitcnt vmcnt(0) lgkmcnt(0)
	flat_store_byte v[28:29], v27 nt
	flat_store_byte v[28:29], v30 offset:64 nt
	flat_store_byte v[28:29], v31 offset:128 nt
	flat_store_byte v[28:29], v32 offset:192 nt
	flat_store_byte v[28:29], v33 offset:256 nt
	flat_store_byte v[28:29], v34 offset:320 nt
	flat_store_byte v[28:29], v35 offset:384 nt
	flat_store_byte v[28:29], v36 offset:448 nt
	flat_store_byte v[28:29], v37 offset:512 nt
	flat_store_byte v[28:29], v38 offset:576 nt
	flat_store_byte v[28:29], v39 offset:640 nt
	flat_store_byte v[28:29], v48 offset:704 nt
	flat_store_byte v[28:29], v49 offset:768 nt
	flat_store_byte v[28:29], v50 offset:832 nt
	flat_store_byte v[28:29], v51 offset:896 nt
	flat_store_byte v[28:29], v52 offset:960 nt
	flat_store_byte v[28:29], v53 offset:1024 nt
	flat_store_byte v[28:29], v54 offset:1088 nt
	flat_store_byte v[28:29], v55 offset:1152 nt
	flat_store_byte v[28:29], v64 offset:1216 nt
	flat_store_byte v[28:29], v65 offset:1280 nt
	flat_store_byte v[28:29], v66 offset:1344 nt
	flat_store_byte v[28:29], v67 offset:1408 nt
	flat_store_byte v[28:29], v68 offset:1472 nt
	flat_store_byte v[28:29], v69 offset:1536 nt
	flat_store_byte v[28:29], v70 offset:1600 nt
	flat_store_byte v[28:29], v71 offset:1664 nt
	flat_store_byte v[28:29], v80 offset:1728 nt
	flat_store_byte v[28:29], v81 offset:1792 nt
	flat_store_byte v[28:29], v82 offset:1856 nt
	flat_store_byte v[28:29], v83 offset:1920 nt
	flat_store_byte v[28:29], v84 offset:1984 nt
	s_andn2_b64 exec, exec, s[6:7]
	s_cbranch_execnz .LBB10_33
; %bb.34:
	s_or_b64 exec, exec, s[6:7]
.LBB10_35:
	s_or_b64 exec, exec, s[0:1]
	v_lshlrev_b64 v[6:7], 11, v[6:7]
	v_cmp_ne_u64_e32 vcc, v[4:5], v[6:7]
	s_and_b64 exec, exec, vcc
	s_cbranch_execz .LBB10_39
; %bb.36:
	v_lshlrev_b32_e32 v3, 6, v26
	v_sub_u32_e32 v3, v25, v3
	v_lshlrev_b32_e32 v2, 6, v2
	v_sub_u32_e32 v8, v3, v2
	v_ashrrev_i32_e32 v9, 31, v8
	v_lshl_add_u64 v[2:3], v[6:7], 0, v[8:9]
	v_sub_co_u32_e32 v2, vcc, v4, v2
	s_mov_b64 s[0:1], 0
	s_nop 0
	v_subb_co_u32_e32 v3, vcc, v5, v3, vcc
	v_cmp_lt_i64_e32 vcc, 0, v[2:3]
	s_and_b64 exec, exec, vcc
	s_cbranch_execz .LBB10_39
; %bb.37:
	v_ashrrev_i16_e32 v4, 15, v24
	v_lshrrev_b16_e32 v4, 10, v4
	v_add_u16_e32 v4, v24, v4
	v_ashrrev_i16_e32 v4, 6, v4
	v_mov_b32_e32 v5, 6
	v_lshl_add_u64 v[0:1], v[14:15], 0, v[0:1]
	v_lshlrev_b32_sdwa v4, v5, sext(v4) dst_sel:DWORD dst_unused:UNUSED_PAD src0_sel:DWORD src1_sel:WORD_0
	v_lshl_add_u64 v[0:1], v[0:1], 0, v[6:7]
	v_ashrrev_i32_e32 v5, 31, v4
	v_lshl_add_u64 v[0:1], v[0:1], 0, v[8:9]
.LBB10_38:                              ; =>This Inner Loop Header: Depth=1
	v_lshl_add_u64 v[6:7], v[12:13], 0, v[0:1]
	flat_load_ubyte v8, v[6:7] nt
	v_sub_co_u32_e32 v2, vcc, v2, v4
	v_lshl_add_u64 v[6:7], v[10:11], 0, v[0:1]
	s_nop 0
	v_subb_co_u32_e32 v3, vcc, v3, v5, vcc
	v_cmp_gt_i64_e32 vcc, 1, v[2:3]
	v_lshl_add_u64 v[0:1], v[0:1], 0, v[4:5]
	s_or_b64 s[0:1], vcc, s[0:1]
	s_waitcnt vmcnt(0) lgkmcnt(0)
	flat_store_byte v[6:7], v8 nt
	s_andn2_b64 exec, exec, s[0:1]
	s_cbranch_execnz .LBB10_38
.LBB10_39:
	s_or_b64 exec, exec, s[4:5]
                                        ; implicit-def: $vgpr54_vgpr55
                                        ; implicit-def: $vgpr14_vgpr15
                                        ; implicit-def: $vgpr4_vgpr5
                                        ; implicit-def: $vgpr48_vgpr49
                                        ; implicit-def: $vgpr3
                                        ; implicit-def: $vgpr2
                                        ; implicit-def: $vgpr0
                                        ; implicit-def: $vgpr31
                                        ; implicit-def: $vgpr12_vgpr13
                                        ; implicit-def: $vgpr8_vgpr9
	s_andn2_saveexec_b64 s[18:19], s[2:3]
	s_cbranch_execz .LBB10_10
.LBB10_40:
	s_load_dword s0, s[8:9], 0x0
	v_mov_b32_e32 v39, 0
	v_lshrrev_b64 v[6:7], 31, v[8:9]
	v_ashrrev_i32_e32 v1, 31, v0
	v_and_b32_e32 v24, 3, v6
	s_waitcnt lgkmcnt(0)
	s_cmp_lt_u32 s12, s0
	s_cselect_b32 s0, 12, 18
	s_add_u32 s0, s8, s0
	s_addc_u32 s1, s9, 0
	global_load_ushort v30, v39, s[0:1]
	s_trap 2
	ds_read_b32 v38, v0
	v_lshrrev_b32_e32 v6, 26, v1
	v_add_u32_e32 v6, v0, v6
	v_and_b32_e32 v6, 0xffffffc0, v6
	v_sub_u32_e32 v28, v0, v6
	s_waitcnt lgkmcnt(0)
	v_cmp_gt_i32_e32 vcc, 0, v38
	s_mov_b32 s2, 0
	v_mov_b64_e32 v[16:17], 0
	v_cmp_eq_u32_e64 s[0:1], 0, v28
	s_cbranch_vccnz .LBB10_42
; %bb.41:
	s_trap 2
	ds_read_b64 v[6:7], v0
	v_lshlrev_b64 v[8:9], 3, v[38:39]
	s_movk_i32 s2, 0xa8
	s_waitcnt lgkmcnt(0)
	v_lshl_add_u64 v[6:7], v[6:7], 0, v[8:9]
	flat_load_dwordx2 v[6:7], v[6:7]
	v_and_b32_e32 v8, 0xffff, v24
	s_waitcnt vmcnt(0) lgkmcnt(0)
	v_mad_u64_u32 v[6:7], s[2:3], v8, s2, v[6:7]
	flat_load_dwordx2 v[20:21], v[6:7] offset:504
	flat_load_dwordx2 v[22:23], v[6:7] offset:608
	s_mov_b64 s[2:3], 0x1f8
	v_lshl_add_u64 v[18:19], v[6:7], 0, s[2:3]
	v_cndmask_b32_e64 v9, 0, v19, s[0:1]
	v_cndmask_b32_e64 v8, 0, v18, s[0:1]
	s_mov_b32 s2, 1
	s_branch .LBB10_43
.LBB10_42:
	v_mov_b64_e32 v[18:19], 0
                                        ; implicit-def: $vgpr22_vgpr23
                                        ; implicit-def: $vgpr20_vgpr21
	v_mov_b64_e32 v[8:9], 0
.LBB10_43:
	s_trap 2
	ds_read_b32 v6, v0
	s_waitcnt lgkmcnt(0)
	v_cmp_gt_i32_e32 vcc, 0, v6
	s_cbranch_vccnz .LBB10_45
; %bb.44:
	s_trap 2
	ds_read_b64 v[16:17], v0
	v_mov_b32_e32 v7, 0
	v_lshlrev_b64 v[6:7], 3, v[6:7]
	s_movk_i32 s0, 0xa8
	v_cmp_eq_u32_e32 vcc, 0, v28
	s_waitcnt lgkmcnt(0)
	v_lshl_add_u64 v[6:7], v[16:17], 0, v[6:7]
	flat_load_dwordx2 v[6:7], v[6:7]
	v_and_b32_e32 v16, 0xffff, v24
	s_waitcnt vmcnt(0) lgkmcnt(0)
	v_mad_u64_u32 v[16:17], s[0:1], v16, s0, v[6:7]
	flat_load_dwordx2 v[24:25], v[16:17]
	flat_load_dwordx2 v[26:27], v[16:17] offset:104
	v_cndmask_b32_e32 v35, 0, v17, vcc
	v_cndmask_b32_e32 v34, 0, v16, vcc
	s_branch .LBB10_46
.LBB10_45:
                                        ; implicit-def: $vgpr26_vgpr27
                                        ; implicit-def: $vgpr24_vgpr25
	v_mov_b64_e32 v[34:35], 0
.LBB10_46:
	v_subrev_u32_e32 v6, 64, v2
	v_cmp_ge_i32_e32 vcc, v0, v6
	v_cmp_gt_i32_e64 s[0:1], s2, v28
	s_and_b64 s[20:21], vcc, s[0:1]
	v_mov_b64_e32 v[6:7], 0
	v_mov_b64_e32 v[32:33], 0
                                        ; implicit-def: $vgpr28_vgpr29
	s_and_saveexec_b64 s[0:1], s[20:21]
	s_cbranch_execz .LBB10_48
; %bb.47:
	flat_load_dwordx2 v[32:33], v[8:9] offset:56
	flat_load_dwordx2 v[28:29], v[8:9] offset:104
.LBB10_48:
	s_or_b64 exec, exec, s[0:1]
	v_cmp_gt_i32_e64 s[0:1], s2, v0
	v_mov_b64_e32 v[36:37], 0
                                        ; implicit-def: $vgpr52_vgpr53
	s_and_saveexec_b64 s[2:3], s[0:1]
	s_cbranch_execz .LBB10_50
; %bb.49:
	flat_load_dwordx2 v[36:37], v[34:35] offset:56
	s_waitcnt vmcnt(0) lgkmcnt(0)
	flat_load_dwordx2 v[52:53], v[36:37] sc0 sc1
	s_waitcnt vmcnt(0)
	flat_load_dwordx4 v[6:9], v[34:35] offset:96
.LBB10_50:
	s_or_b64 exec, exec, s[2:3]
	v_mov_b64_e32 v[34:35], 0
	s_waitcnt vmcnt(0)
	v_cmp_ne_u64_e32 vcc, 0, v[4:5]
	s_and_saveexec_b64 s[22:23], vcc
	s_cbranch_execnz .LBB10_54
; %bb.51:
	s_or_b64 exec, exec, s[22:23]
	s_and_saveexec_b64 s[2:3], s[20:21]
	s_cbranch_execnz .LBB10_327
.LBB10_52:
	s_or_b64 exec, exec, s[2:3]
	s_and_saveexec_b64 s[2:3], s[0:1]
	s_cbranch_execnz .LBB10_328
.LBB10_53:
	s_or_b64 exec, exec, s[2:3]
	v_cmp_ne_u32_e32 vcc, 64, v2
	s_and_saveexec_b64 s[0:1], vcc
	s_cbranch_execnz .LBB10_329
	s_branch .LBB10_346
.LBB10_54:
	v_ashrrev_i32_e32 v34, 31, v38
	v_lshrrev_b32_e32 v34, 29, v34
	v_add_u32_e32 v34, v38, v34
	v_ashrrev_i32_e32 v114, 7, v34
	v_lshlrev_b32_e32 v34, 4, v48
	v_and_b32_e32 v38, 0x1fffff0, v34
	v_cvt_f64_u32_e32 v[34:35], 0
	v_lshlrev_b32_e32 v64, 3, v0
	v_ldexp_f64 v[34:35], v[34:35], 32
	v_cvt_f64_u32_e32 v[50:51], v38
	v_ashrrev_i32_e32 v65, 31, v64
	v_mov_b32_e32 v49, 0
	v_add_f64 v[50:51], v[34:35], v[50:51]
	v_cmp_ne_u32_e64 s[2:3], v54, v3
	v_cmp_ne_u32_e64 s[4:5], v55, v3
	v_and_b32_e32 v3, 63, v31
	v_lshl_add_u64 v[34:35], v[14:15], 0, v[64:65]
	v_cmp_eq_u32_e64 s[12:13], 0, v3
	v_cmp_ne_u64_e32 vcc, v[12:13], v[10:11]
	s_xor_b64 s[16:17], s[16:17], -1
	v_mov_b32_e32 v3, v49
	v_lshl_add_u64 v[80:81], v[34:35], 0, v[12:13]
	v_and_b32_e32 v12, 0x1fffff, v48
	v_mov_b32_e32 v39, v49
	s_mov_b64 s[24:25], 0
	v_cmp_ne_u64_e64 s[6:7], 0, v[36:37]
	s_waitcnt lgkmcnt(0)
	v_cmp_ne_u64_e64 s[8:9], 0, v[6:7]
	v_cmp_ne_u32_e64 s[10:11], 64, v2
	v_cmp_ne_u32_sdwa s[26:27], v2, v30 src0_sel:DWORD src1_sel:WORD_0
	v_lshrrev_b32_e32 v54, 6, v2
	v_mov_b32_e32 v55, v49
	v_lshlrev_b32_e32 v66, 3, v2
	v_lshl_add_u64 v[68:69], v[10:11], 0, v[64:65]
	v_mov_b32_e32 v67, v49
	v_cmp_ne_u64_e64 s[14:15], 0, v[32:33]
	s_and_b64 s[28:29], s[16:17], vcc
	v_lshlrev_b64 v[70:71], 4, v[2:3]
	v_not_b32_e32 v3, v64
	v_lshlrev_b32_e32 v65, 3, v80
	v_lshlrev_b32_e32 v115, 7, v12
	;; [unrolled: 1-line block ×3, first 2 shown]
	v_lshl_add_u64 v[82:83], v[10:11], 0, v[34:35]
	v_lshl_add_u64 v[84:85], v[0:1], 4, v[24:25]
	v_mov_b64_e32 v[86:87], 0
	v_mov_b64_e32 v[34:35], 0
	s_mov_b64 s[40:41], 0x7ffffff8
	v_mov_b32_e32 v117, 1
	v_mov_b32_e32 v118, 0
	s_branch .LBB10_58
.LBB10_55:                              ;   in Loop: Header=BB10_58 Depth=1
	s_or_b64 exec, exec, s[16:17]
	v_lshl_add_u64 v[26:27], v[26:27], 0, 1
.LBB10_56:                              ;   in Loop: Header=BB10_58 Depth=1
	s_or_b64 exec, exec, s[44:45]
.LBB10_57:                              ;   in Loop: Header=BB10_58 Depth=1
	s_or_b64 exec, exec, s[42:43]
	v_lshl_add_u64 v[86:87], v[86:87], 0, v[38:39]
	v_cmp_ge_u64_e32 vcc, v[86:87], v[4:5]
	v_lshl_add_u64 v[80:81], v[80:81], 0, v[38:39]
	v_add_u32_e32 v65, v65, v115
	s_or_b64 s[24:25], vcc, s[24:25]
	v_lshl_add_u64 v[82:83], v[82:83], 0, v[38:39]
	s_andn2_b64 exec, exec, s[24:25]
	s_cbranch_execz .LBB10_326
.LBB10_58:                              ; =>This Loop Header: Depth=1
                                        ;     Child Loop BB10_65 Depth 2
                                        ;     Child Loop BB10_84 Depth 2
	;; [unrolled: 1-line block ×3, first 2 shown]
                                        ;       Child Loop BB10_128 Depth 3
                                        ;     Child Loop BB10_194 Depth 2
                                        ;     Child Loop BB10_101 Depth 2
                                        ;     Child Loop BB10_156 Depth 2
                                        ;       Child Loop BB10_160 Depth 3
                                        ;     Child Loop BB10_206 Depth 2
                                        ;     Child Loop BB10_116 Depth 2
	;; [unrolled: 1-line block ×9, first 2 shown]
	v_sub_co_u32_e32 v1, vcc, v4, v86
	s_waitcnt vmcnt(0)
	v_cvt_f64_u32_e32 v[12:13], v1
	v_subb_co_u32_e32 v10, vcc, v5, v87, vcc
	v_cvt_f64_u32_e32 v[10:11], v10
	v_ldexp_f64 v[10:11], v[10:11], 32
	v_add_f64 v[10:11], v[10:11], v[12:13]
	v_max_f64 v[12:13], v[50:51], v[50:51]
	v_min_f64 v[10:11], v[12:13], v[10:11]
	v_cvt_i32_f64_e32 v1, v[10:11]
	v_max_i32_e32 v1, 0, v1
	s_and_saveexec_b64 s[16:17], s[2:3]
	s_xor_b64 s[42:43], exec, s[16:17]
	s_cbranch_execz .LBB10_109
; %bb.59:                               ;   in Loop: Header=BB10_58 Depth=1
	v_lshl_add_u64 v[10:11], v[86:87], 0, v[14:15]
	s_and_saveexec_b64 s[16:17], s[4:5]
	s_xor_b64 s[44:45], exec, s[16:17]
	s_cbranch_execz .LBB10_103
; %bb.60:                               ;   in Loop: Header=BB10_58 Depth=1
	s_and_saveexec_b64 s[46:47], s[6:7]
	s_cbranch_execz .LBB10_76
; %bb.61:                               ;   in Loop: Header=BB10_58 Depth=1
	v_lshl_add_u64 v[12:13], v[8:9], 0, 1
	s_waitcnt lgkmcnt(0)
	v_lshl_add_u64 v[96:97], v[52:53], 0, 8
	v_cmp_lt_u64_e32 vcc, v[96:97], v[12:13]
	s_and_saveexec_b64 s[56:57], vcc
	s_cbranch_execz .LBB10_73
; %bb.62:                               ;   in Loop: Header=BB10_58 Depth=1
	s_mov_b32 s92, 0
	v_cmp_eq_u32_e32 vcc, 0, v118
	s_mov_b64 s[58:59], 0
                                        ; implicit-def: $sgpr60_sgpr61
                                        ; implicit-def: $sgpr62_sgpr63
                                        ; implicit-def: $sgpr72_sgpr73
	s_branch .LBB10_65
.LBB10_63:                              ;   in Loop: Header=BB10_65 Depth=2
	s_or_b64 exec, exec, s[90:91]
	s_andn2_b64 s[16:17], s[72:73], exec
	s_and_b64 s[72:73], s[78:79], exec
	s_or_b64 s[72:73], s[16:17], s[72:73]
	s_andn2_b64 s[16:17], s[62:63], exec
	s_and_b64 s[62:63], s[76:77], exec
	s_or_b64 s[62:63], s[16:17], s[62:63]
.LBB10_64:                              ;   in Loop: Header=BB10_65 Depth=2
	s_or_b64 exec, exec, s[74:75]
	s_and_b64 s[16:17], exec, s[62:63]
	s_or_b64 s[58:59], s[16:17], s[58:59]
	s_andn2_b64 s[16:17], s[60:61], exec
	s_and_b64 s[60:61], s[72:73], exec
	s_or_b64 s[60:61], s[16:17], s[60:61]
	s_andn2_b64 exec, exec, s[58:59]
	s_cbranch_execz .LBB10_70
.LBB10_65:                              ;   Parent Loop BB10_58 Depth=1
                                        ; =>  This Inner Loop Header: Depth=2
	s_sleep 1
	s_waitcnt vmcnt(0) lgkmcnt(0)
	flat_load_dwordx2 v[52:53], v[36:37] sc1
	v_mov_b32_e32 v118, 1
	s_or_b64 s[72:73], s[72:73], exec
	s_or_b64 s[62:63], s[62:63], exec
                                        ; implicit-def: $vgpr9
	s_and_saveexec_b64 s[74:75], vcc
	s_cbranch_execz .LBB10_64
; %bb.66:                               ;   in Loop: Header=BB10_65 Depth=2
	s_add_i32 s92, s92, 1
	s_cmpk_lg_i32 s92, 0x2710
	s_cselect_b64 s[88:89], -1, 0
	s_cmpk_eq_i32 s92, 0x2710
	s_mov_b64 s[76:77], -1
	s_mov_b64 s[78:79], -1
                                        ; implicit-def: $vgpr9
	s_cbranch_scc1 .LBB10_68
; %bb.67:                               ;   in Loop: Header=BB10_65 Depth=2
	v_mov_b32_e32 v118, 1
	s_and_saveexec_b64 s[90:91], s[88:89]
	s_cbranch_execz .LBB10_63
	s_branch .LBB10_69
.LBB10_68:                              ;   in Loop: Header=BB10_65 Depth=2
	s_trap 2
	ds_read_b64 v[96:97], v0
	s_andn2_b64 s[88:89], s[88:89], exec
	s_mov_b32 s92, 0
	s_mov_b64 s[78:79], 0
	s_waitcnt vmcnt(0) lgkmcnt(0)
	flat_load_dword v9, v[96:97] sc0 sc1
	s_waitcnt vmcnt(0) lgkmcnt(0)
	buffer_inv sc0 sc1
	v_cmp_eq_u32_e64 s[16:17], 0, v9
	s_and_b64 s[16:17], s[16:17], exec
	s_or_b64 s[88:89], s[88:89], s[16:17]
	v_mov_b32_e32 v118, 1
	s_and_saveexec_b64 s[90:91], s[88:89]
	s_cbranch_execz .LBB10_63
.LBB10_69:                              ;   in Loop: Header=BB10_65 Depth=2
	s_waitcnt vmcnt(0) lgkmcnt(0)
	v_lshl_add_u64 v[96:97], v[52:53], 0, 8
	v_cmp_ge_u64_e64 s[16:17], v[96:97], v[12:13]
	v_mov_b32_e32 v118, 0
	s_or_b64 s[78:79], s[78:79], exec
	s_orn2_b64 s[76:77], s[16:17], exec
	s_branch .LBB10_63
.LBB10_70:                              ;   in Loop: Header=BB10_58 Depth=1
	s_or_b64 exec, exec, s[58:59]
	s_xor_b64 s[16:17], s[60:61], -1
	s_and_saveexec_b64 s[58:59], s[16:17]
	s_xor_b64 s[16:17], exec, s[58:59]
	s_cbranch_execz .LBB10_72
; %bb.71:                               ;   in Loop: Header=BB10_58 Depth=1
	v_mov_b32_e32 v118, 1
	s_waitcnt lgkmcnt(0)
	ds_write_b32 v0, v9
	s_trap 2
.LBB10_72:                              ;   in Loop: Header=BB10_58 Depth=1
	s_or_b64 exec, exec, s[16:17]
.LBB10_73:                              ;   in Loop: Header=BB10_58 Depth=1
	s_or_b64 exec, exec, s[56:57]
	s_and_saveexec_b64 s[16:17], s[8:9]
	s_cbranch_execz .LBB10_75
; %bb.74:                               ;   in Loop: Header=BB10_58 Depth=1
	v_add_u32_e32 v9, 7, v1
	v_ashrrev_i32_e32 v48, 31, v9
	v_lshrrev_b32_e32 v48, 29, v48
	v_add_u32_e32 v9, v9, v48
	v_and_b32_e32 v48, 0x7ffffff8, v8
	v_lshrrev_b32_e32 v9, 3, v9
	v_cmp_eq_u64_e32 vcc, s[40:41], v[48:49]
	v_and_b32_e32 v8, 7, v8
	s_nop 0
	v_cndmask_b32_e32 v9, v9, v114, vcc
	v_lshlrev_b32_e32 v96, 4, v9
	v_ashrrev_i32_e32 v97, 31, v96
	v_mad_u64_u32 v[8:9], s[56:57], v8, 24, v[6:7]
	flat_store_dwordx2 v[8:9], v[96:97] offset:8 sc0 sc1
	s_waitcnt vmcnt(0)
.LBB10_75:                              ;   in Loop: Header=BB10_58 Depth=1
	s_or_b64 exec, exec, s[16:17]
	v_mov_b64_e32 v[8:9], v[12:13]
.LBB10_76:                              ;   in Loop: Header=BB10_58 Depth=1
	s_or_b64 exec, exec, s[46:47]
	s_and_saveexec_b64 s[16:17], s[10:11]
	s_cbranch_execz .LBB10_95
; %bb.77:                               ;   in Loop: Header=BB10_58 Depth=1
	s_and_saveexec_b64 s[46:47], s[26:27]
	s_xor_b64 s[46:47], exec, s[46:47]
	s_cbranch_execz .LBB10_92
; %bb.78:                               ;   in Loop: Header=BB10_58 Depth=1
	s_and_saveexec_b64 s[56:57], s[12:13]
	s_cbranch_execz .LBB10_91
; %bb.79:                               ;   in Loop: Header=BB10_58 Depth=1
	s_mov_b64 s[60:61], exec
	v_mbcnt_lo_u32_b32 v12, s60, 0
	v_mbcnt_hi_u32_b32 v12, s61, v12
	v_cmp_eq_u32_e32 vcc, 0, v12
	buffer_wbl2 sc1
	s_waitcnt vmcnt(0) lgkmcnt(0)
	buffer_inv sc1
	s_and_saveexec_b64 s[58:59], vcc
	s_cbranch_execz .LBB10_81
; %bb.80:                               ;   in Loop: Header=BB10_58 Depth=1
	s_bcnt1_i32_b64 s60, s[60:61]
	v_mov_b32_e32 v48, s60
	ds_add_u64 v0, v[48:49]
	s_trap 2
.LBB10_81:                              ;   in Loop: Header=BB10_58 Depth=1
	s_or_b64 exec, exec, s[58:59]
	s_trap 2
	ds_read_b64 v[12:13], v0
	s_waitcnt lgkmcnt(0)
	v_lshl_add_u64 v[34:35], v[34:35], 0, v[54:55]
	v_cmp_lt_u64_e32 vcc, v[12:13], v[34:35]
	s_and_saveexec_b64 s[58:59], vcc
	s_cbranch_execz .LBB10_90
; %bb.82:                               ;   in Loop: Header=BB10_58 Depth=1
	s_mov_b32 s88, 0
	s_mov_b64 s[60:61], 0
                                        ; implicit-def: $sgpr62_sgpr63
                                        ; implicit-def: $sgpr72_sgpr73
	s_branch .LBB10_84
.LBB10_83:                              ;   in Loop: Header=BB10_84 Depth=2
	s_or_b64 exec, exec, s[76:77]
	s_and_b64 s[74:75], exec, s[78:79]
	s_or_b64 s[60:61], s[74:75], s[60:61]
	s_andn2_b64 s[62:63], s[62:63], exec
	s_and_b64 s[74:75], s[72:73], exec
	s_or_b64 s[62:63], s[62:63], s[74:75]
	s_andn2_b64 exec, exec, s[60:61]
	s_cbranch_execz .LBB10_88
.LBB10_84:                              ;   Parent Loop BB10_58 Depth=1
                                        ; =>  This Inner Loop Header: Depth=2
	s_add_i32 s88, s88, 1
	s_cmpk_lg_i32 s88, 0x2710
	s_cselect_b64 s[74:75], -1, 0
	s_and_b64 vcc, exec, s[74:75]
	s_cbranch_vccz .LBB10_86
; %bb.85:                               ;   in Loop: Header=BB10_84 Depth=2
	s_mov_b64 s[78:79], -1
	s_or_b64 s[72:73], s[72:73], exec
	s_and_saveexec_b64 s[76:77], s[74:75]
	s_cbranch_execz .LBB10_83
	s_branch .LBB10_87
.LBB10_86:                              ;   in Loop: Header=BB10_84 Depth=2
	s_trap 2
	ds_read_b64 v[12:13], v0
	s_andn2_b64 s[74:75], s[74:75], exec
	s_mov_b32 s88, 0
	s_waitcnt lgkmcnt(0)
	flat_load_dword v12, v[12:13] sc0 sc1
	s_waitcnt vmcnt(0) lgkmcnt(0)
	buffer_inv sc0 sc1
	v_cmp_eq_u32_e32 vcc, 0, v12
	s_and_b64 s[76:77], vcc, exec
	s_or_b64 s[74:75], s[74:75], s[76:77]
	s_mov_b64 s[78:79], -1
	s_or_b64 s[72:73], s[72:73], exec
	s_and_saveexec_b64 s[76:77], s[74:75]
	s_cbranch_execz .LBB10_83
.LBB10_87:                              ;   in Loop: Header=BB10_84 Depth=2
	s_sleep 1
	s_trap 2
	ds_read_b64 v[12:13], v0
	s_waitcnt lgkmcnt(0)
	s_andn2_b64 s[72:73], s[72:73], exec
	v_cmp_ge_u64_e32 vcc, v[12:13], v[34:35]
	s_orn2_b64 s[78:79], vcc, exec
	s_branch .LBB10_83
.LBB10_88:                              ;   in Loop: Header=BB10_58 Depth=1
	s_or_b64 exec, exec, s[60:61]
	s_and_saveexec_b64 s[60:61], s[62:63]
	s_xor_b64 s[60:61], exec, s[60:61]
	s_cbranch_execz .LBB10_90
; %bb.89:                               ;   in Loop: Header=BB10_58 Depth=1
	ds_write_b32 v0, v117
	s_trap 2
.LBB10_90:                              ;   in Loop: Header=BB10_58 Depth=1
	s_or_b64 exec, exec, s[58:59]
	;;#ASMSTART
	s_wakeup
	;;#ASMEND
.LBB10_91:                              ;   in Loop: Header=BB10_58 Depth=1
	s_or_b64 exec, exec, s[56:57]
.LBB10_92:                              ;   in Loop: Header=BB10_58 Depth=1
	s_andn2_saveexec_b64 s[46:47], s[46:47]
	s_cbranch_execz .LBB10_94
; %bb.93:                               ;   in Loop: Header=BB10_58 Depth=1
	buffer_wbl2 sc1
	s_waitcnt vmcnt(0) lgkmcnt(0)
	buffer_inv sc1
	s_barrier
.LBB10_94:                              ;   in Loop: Header=BB10_58 Depth=1
	s_or_b64 exec, exec, s[46:47]
.LBB10_95:                              ;   in Loop: Header=BB10_58 Depth=1
	s_or_b64 exec, exec, s[16:17]
	v_sub_u32_e32 v48, v1, v64
	v_cmp_lt_i32_e32 vcc, 0, v48
	v_mov_b32_e32 v96, v0
	s_and_saveexec_b64 s[46:47], vcc
	s_cbranch_execnz .LBB10_122
; %bb.96:                               ;   in Loop: Header=BB10_58 Depth=1
	s_or_b64 exec, exec, s[46:47]
	s_and_saveexec_b64 s[16:17], s[10:11]
	s_cbranch_execnz .LBB10_187
.LBB10_97:                              ;   in Loop: Header=BB10_58 Depth=1
	s_or_b64 exec, exec, s[16:17]
	s_and_saveexec_b64 s[16:17], s[14:15]
	s_cbranch_execz .LBB10_99
.LBB10_98:                              ;   in Loop: Header=BB10_58 Depth=1
	v_lshl_add_u64 v[28:29], v[28:29], 0, 1
	flat_store_dwordx2 v[32:33], v[28:29] sc0 sc1
.LBB10_99:                              ;   in Loop: Header=BB10_58 Depth=1
	s_or_b64 exec, exec, s[16:17]
	v_and_b32_e32 v48, 0x7ffffff8, v26
	v_cmp_eq_u64_e32 vcc, s[40:41], v[48:49]
	v_cmp_lt_i32_e64 s[16:17], v96, v114
	s_and_b64 s[46:47], vcc, s[16:17]
	s_and_saveexec_b64 s[16:17], s[46:47]
	s_cbranch_execz .LBB10_102
; %bb.100:                              ;   in Loop: Header=BB10_58 Depth=1
	v_and_b32_e32 v1, 7, v26
	v_mul_lo_u32 v12, v1, v114
	v_ashrrev_i32_e32 v13, 31, v12
	v_ashrrev_i32_e32 v97, 31, v96
	v_lshlrev_b64 v[12:13], 4, v[12:13]
	v_lshl_add_u64 v[12:13], v[96:97], 4, v[12:13]
	v_add_u32_e32 v11, 1, v26
	v_mov_b32_e32 v10, v49
	v_lshl_add_u64 v[98:99], v[24:25], 0, v[12:13]
	s_mov_b64 s[46:47], 0
.LBB10_101:                             ;   Parent Loop BB10_58 Depth=1
                                        ; =>  This Inner Loop Header: Depth=2
	v_add_u32_e32 v96, v96, v2
	v_mov_b32_e32 v12, v10
	v_mov_b32_e32 v13, v11
	v_cmp_ge_i32_e32 vcc, v96, v114
	global_store_dwordx4 v[98:99], v[10:13], off
	s_or_b64 s[46:47], vcc, s[46:47]
	v_lshl_add_u64 v[98:99], v[98:99], 0, v[70:71]
	buffer_wbl2 sc0 sc1
	s_waitcnt vmcnt(0) lgkmcnt(0)
	s_andn2_b64 exec, exec, s[46:47]
	s_cbranch_execnz .LBB10_101
.LBB10_102:                             ;   in Loop: Header=BB10_58 Depth=1
	s_or_b64 exec, exec, s[16:17]
	v_lshl_add_u64 v[22:23], v[22:23], 0, 1
	v_lshl_add_u64 v[26:27], v[26:27], 0, 1
                                        ; implicit-def: $vgpr1
                                        ; implicit-def: $vgpr10_vgpr11
.LBB10_103:                             ;   in Loop: Header=BB10_58 Depth=1
	s_andn2_saveexec_b64 s[44:45], s[44:45]
	s_cbranch_execz .LBB10_121
; %bb.104:                              ;   in Loop: Header=BB10_58 Depth=1
	v_sub_u32_e32 v1, v1, v64
	v_cmp_lt_i32_e32 vcc, 0, v1
	s_and_saveexec_b64 s[46:47], vcc
	s_cbranch_execnz .LBB10_154
; %bb.105:                              ;   in Loop: Header=BB10_58 Depth=1
	s_or_b64 exec, exec, s[46:47]
	s_and_saveexec_b64 s[16:17], s[10:11]
	s_cbranch_execnz .LBB10_199
.LBB10_106:                             ;   in Loop: Header=BB10_58 Depth=1
	s_or_b64 exec, exec, s[16:17]
	s_and_saveexec_b64 s[16:17], s[14:15]
	s_cbranch_execz .LBB10_108
.LBB10_107:                             ;   in Loop: Header=BB10_58 Depth=1
	v_lshl_add_u64 v[28:29], v[28:29], 0, 1
	flat_store_dwordx2 v[32:33], v[28:29] sc0 sc1
.LBB10_108:                             ;   in Loop: Header=BB10_58 Depth=1
	s_or_b64 exec, exec, s[16:17]
	v_lshl_add_u64 v[22:23], v[22:23], 0, 1
	s_or_b64 exec, exec, s[44:45]
                                        ; implicit-def: $vgpr1
.LBB10_109:                             ;   in Loop: Header=BB10_58 Depth=1
	s_andn2_saveexec_b64 s[42:43], s[42:43]
	s_cbranch_execz .LBB10_57
.LBB10_110:                             ;   in Loop: Header=BB10_58 Depth=1
	s_waitcnt vmcnt(0)
	v_add_u32_e32 v10, 7, v1
	v_ashrrev_i32_e32 v11, 31, v10
	v_lshrrev_b32_e32 v11, 29, v11
	v_add_u32_e32 v10, v10, v11
	v_ashrrev_i32_e32 v12, 3, v10
	s_and_saveexec_b64 s[16:17], s[28:29]
	s_xor_b64 s[44:45], exec, s[16:17]
	s_cbranch_execz .LBB10_279
; %bb.111:                              ;   in Loop: Header=BB10_58 Depth=1
	s_and_saveexec_b64 s[46:47], s[6:7]
	s_cbranch_execz .LBB10_216
; %bb.112:                              ;   in Loop: Header=BB10_58 Depth=1
	v_lshl_add_u64 v[10:11], v[8:9], 0, 1
	s_waitcnt lgkmcnt(0)
	v_lshl_add_u64 v[96:97], v[52:53], 0, 8
	v_cmp_lt_u64_e32 vcc, v[96:97], v[10:11]
	s_and_saveexec_b64 s[56:57], vcc
	s_cbranch_execz .LBB10_213
; %bb.113:                              ;   in Loop: Header=BB10_58 Depth=1
	s_mov_b32 s92, 0
	v_cmp_eq_u32_e32 vcc, 0, v118
	s_mov_b64 s[58:59], 0
                                        ; implicit-def: $sgpr60_sgpr61
                                        ; implicit-def: $sgpr62_sgpr63
                                        ; implicit-def: $sgpr72_sgpr73
	s_branch .LBB10_116
.LBB10_114:                             ;   in Loop: Header=BB10_116 Depth=2
	s_or_b64 exec, exec, s[90:91]
	s_andn2_b64 s[16:17], s[72:73], exec
	s_and_b64 s[72:73], s[78:79], exec
	s_or_b64 s[72:73], s[16:17], s[72:73]
	s_andn2_b64 s[16:17], s[62:63], exec
	s_and_b64 s[62:63], s[76:77], exec
	s_or_b64 s[62:63], s[16:17], s[62:63]
.LBB10_115:                             ;   in Loop: Header=BB10_116 Depth=2
	s_or_b64 exec, exec, s[74:75]
	s_and_b64 s[16:17], exec, s[62:63]
	s_or_b64 s[58:59], s[16:17], s[58:59]
	s_andn2_b64 s[16:17], s[60:61], exec
	s_and_b64 s[60:61], s[72:73], exec
	s_or_b64 s[60:61], s[16:17], s[60:61]
	s_andn2_b64 exec, exec, s[58:59]
	s_cbranch_execz .LBB10_210
.LBB10_116:                             ;   Parent Loop BB10_58 Depth=1
                                        ; =>  This Inner Loop Header: Depth=2
	s_sleep 1
	s_waitcnt vmcnt(0) lgkmcnt(0)
	flat_load_dwordx2 v[52:53], v[36:37] sc1
	v_mov_b32_e32 v118, 1
	s_or_b64 s[72:73], s[72:73], exec
	s_or_b64 s[62:63], s[62:63], exec
                                        ; implicit-def: $vgpr9
	s_and_saveexec_b64 s[74:75], vcc
	s_cbranch_execz .LBB10_115
; %bb.117:                              ;   in Loop: Header=BB10_116 Depth=2
	s_add_i32 s92, s92, 1
	s_cmpk_lg_i32 s92, 0x2710
	s_cselect_b64 s[88:89], -1, 0
	s_cmpk_eq_i32 s92, 0x2710
	s_mov_b64 s[76:77], -1
	s_mov_b64 s[78:79], -1
                                        ; implicit-def: $vgpr9
	s_cbranch_scc1 .LBB10_119
; %bb.118:                              ;   in Loop: Header=BB10_116 Depth=2
	v_mov_b32_e32 v118, 1
	s_and_saveexec_b64 s[90:91], s[88:89]
	s_cbranch_execz .LBB10_114
	s_branch .LBB10_120
.LBB10_119:                             ;   in Loop: Header=BB10_116 Depth=2
	s_trap 2
	ds_read_b64 v[96:97], v0
	s_andn2_b64 s[88:89], s[88:89], exec
	s_mov_b32 s92, 0
	s_mov_b64 s[78:79], 0
	s_waitcnt vmcnt(0) lgkmcnt(0)
	flat_load_dword v9, v[96:97] sc0 sc1
	s_waitcnt vmcnt(0) lgkmcnt(0)
	buffer_inv sc0 sc1
	v_cmp_eq_u32_e64 s[16:17], 0, v9
	s_and_b64 s[16:17], s[16:17], exec
	s_or_b64 s[88:89], s[88:89], s[16:17]
	v_mov_b32_e32 v118, 1
	s_and_saveexec_b64 s[90:91], s[88:89]
	s_cbranch_execz .LBB10_114
.LBB10_120:                             ;   in Loop: Header=BB10_116 Depth=2
	s_waitcnt vmcnt(0) lgkmcnt(0)
	v_lshl_add_u64 v[96:97], v[52:53], 0, 8
	v_cmp_ge_u64_e64 s[16:17], v[96:97], v[10:11]
	v_mov_b32_e32 v118, 0
	s_or_b64 s[78:79], s[78:79], exec
	s_orn2_b64 s[76:77], s[16:17], exec
	s_branch .LBB10_114
.LBB10_121:                             ;   in Loop: Header=BB10_58 Depth=1
	s_or_b64 exec, exec, s[44:45]
                                        ; implicit-def: $vgpr1
	s_andn2_saveexec_b64 s[42:43], s[42:43]
	s_cbranch_execz .LBB10_57
	s_branch .LBB10_110
.LBB10_122:                             ;   in Loop: Header=BB10_58 Depth=1
	v_and_b32_e32 v1, 7, v22
	v_lshl_add_u64 v[98:99], v[68:69], 0, v[10:11]
	v_mul_lo_u32 v10, v1, v114
	v_ashrrev_i32_e32 v11, 31, v10
	v_and_b32_e32 v1, 7, v26
	v_lshl_add_u64 v[100:101], v[10:11], 4, v[20:21]
	v_mul_lo_u32 v10, v1, v114
	v_ashrrev_i32_e32 v11, 31, v10
	v_add_u32_e32 v119, 1, v22
	v_lshl_add_u64 v[102:103], v[10:11], 4, v[24:25]
	v_add_u32_e32 v1, 1, v26
	s_mov_b64 s[56:57], 0
	v_mov_b32_e32 v96, v0
	s_branch .LBB10_124
.LBB10_123:                             ;   in Loop: Header=BB10_124 Depth=2
	v_sub_u32_e32 v48, v48, v66
	v_cmp_gt_i32_e32 vcc, 1, v48
	v_lshl_add_u64 v[98:99], v[98:99], 0, v[66:67]
	s_or_b64 s[56:57], vcc, s[56:57]
	v_add_u32_e32 v96, v96, v2
	s_andn2_b64 exec, exec, s[56:57]
	s_cbranch_execz .LBB10_186
.LBB10_124:                             ;   Parent Loop BB10_58 Depth=1
                                        ; =>  This Loop Header: Depth=2
                                        ;       Child Loop BB10_128 Depth 3
	v_ashrrev_i32_e32 v97, 31, v96
	v_lshl_add_u64 v[112:113], v[96:97], 4, v[100:101]
	global_load_dwordx4 v[10:13], v[112:113], off nt
	v_cmp_eq_u32_e32 vcc, 0, v118
	v_mov_b32_e32 v118, 1
	s_and_saveexec_b64 s[58:59], vcc
	s_cbranch_execz .LBB10_136
; %bb.125:                              ;   in Loop: Header=BB10_124 Depth=2
	s_waitcnt vmcnt(0)
	v_cmp_ne_u32_e32 vcc, v119, v11
	v_cmp_ne_u32_e64 s[16:17], v119, v13
	s_or_b64 s[16:17], vcc, s[16:17]
	v_mov_b32_e32 v118, 0
	s_and_saveexec_b64 s[60:61], s[16:17]
	s_cbranch_execz .LBB10_135
; %bb.126:                              ;   in Loop: Header=BB10_124 Depth=2
	s_mov_b32 s88, 1
	s_mov_b64 s[72:73], 0
                                        ; implicit-def: $sgpr62_sgpr63
                                        ; implicit-def: $sgpr74_sgpr75
	s_branch .LBB10_128
.LBB10_127:                             ;   in Loop: Header=BB10_128 Depth=3
	s_or_b64 exec, exec, s[78:79]
	s_and_b64 s[16:17], exec, s[16:17]
	s_or_b64 s[72:73], s[16:17], s[72:73]
	s_andn2_b64 s[16:17], s[62:63], exec
	s_and_b64 s[62:63], s[74:75], exec
	s_or_b64 s[62:63], s[16:17], s[62:63]
	s_andn2_b64 exec, exec, s[72:73]
	s_cbranch_execz .LBB10_132
.LBB10_128:                             ;   Parent Loop BB10_58 Depth=1
                                        ;     Parent Loop BB10_124 Depth=2
                                        ; =>    This Inner Loop Header: Depth=3
	global_load_dwordx4 v[10:13], v[112:113], off nt
	s_add_i32 s88, s88, 1
	s_mov_b64 s[16:17], -1
	s_cmpk_lg_i32 s88, 0x2710
	s_mov_b64 s[76:77], -1
                                        ; implicit-def: $vgpr40
	s_cbranch_scc0 .LBB10_130
; %bb.129:                              ;   in Loop: Header=BB10_128 Depth=3
	s_or_b64 s[74:75], s[74:75], exec
	s_and_saveexec_b64 s[78:79], s[76:77]
	s_cbranch_execz .LBB10_127
	s_branch .LBB10_131
.LBB10_130:                             ;   in Loop: Header=BB10_128 Depth=3
	s_trap 2
	ds_read_b64 v[40:41], v0
	s_mov_b32 s88, 0
	s_waitcnt vmcnt(0) lgkmcnt(0)
	flat_load_dword v40, v[40:41] sc0 sc1
	s_waitcnt vmcnt(0) lgkmcnt(0)
	buffer_inv sc0 sc1
	v_cmp_eq_u32_e32 vcc, 0, v40
	s_orn2_b64 s[76:77], vcc, exec
	s_or_b64 s[74:75], s[74:75], exec
	s_and_saveexec_b64 s[78:79], s[76:77]
	s_cbranch_execz .LBB10_127
.LBB10_131:                             ;   in Loop: Header=BB10_128 Depth=3
	s_waitcnt vmcnt(0)
	v_cmp_eq_u32_e32 vcc, v119, v11
	v_cmp_eq_u32_e64 s[16:17], v119, v13
	s_and_b64 s[16:17], vcc, s[16:17]
	s_andn2_b64 s[74:75], s[74:75], exec
	s_orn2_b64 s[16:17], s[16:17], exec
	s_branch .LBB10_127
.LBB10_132:                             ;   in Loop: Header=BB10_124 Depth=2
	s_or_b64 exec, exec, s[72:73]
	v_mov_b32_e32 v118, 0
	s_and_saveexec_b64 s[16:17], s[62:63]
	s_xor_b64 s[16:17], exec, s[16:17]
	s_cbranch_execz .LBB10_134
; %bb.133:                              ;   in Loop: Header=BB10_124 Depth=2
	v_mov_b32_e32 v118, 1
	s_waitcnt lgkmcnt(0)
	ds_write_b32 v0, v40
	s_trap 2
.LBB10_134:                             ;   in Loop: Header=BB10_124 Depth=2
	s_or_b64 exec, exec, s[16:17]
.LBB10_135:                             ;   in Loop: Header=BB10_124 Depth=2
	s_or_b64 exec, exec, s[60:61]
.LBB10_136:                             ;   in Loop: Header=BB10_124 Depth=2
	s_or_b64 exec, exec, s[58:59]
	v_cmp_lt_u32_e32 vcc, 7, v48
	v_lshl_add_u64 v[112:113], v[96:97], 4, v[102:103]
	s_waitcnt vmcnt(0)
	v_mov_b32_e32 v11, v1
	v_mov_b32_e32 v13, v1
	s_cmp_lg_u64 vcc, exec
	s_mov_b64 s[16:17], -1
	global_store_dwordx4 v[112:113], v[10:13], off
	buffer_wbl2 sc0 sc1
	s_waitcnt vmcnt(0) lgkmcnt(0)
	s_cbranch_scc0 .LBB10_146
; %bb.137:                              ;   in Loop: Header=BB10_124 Depth=2
	v_cmp_ne_u32_e64 s[16:17], 1, v48
	flat_store_byte v[98:99], v10
	s_and_saveexec_b64 s[58:59], s[16:17]
	s_cbranch_execnz .LBB10_148
; %bb.138:                              ;   in Loop: Header=BB10_124 Depth=2
	s_or_b64 exec, exec, s[58:59]
	v_cmp_lt_u32_e64 s[16:17], 2, v48
	s_and_saveexec_b64 s[58:59], s[16:17]
	s_cbranch_execnz .LBB10_149
.LBB10_139:                             ;   in Loop: Header=BB10_124 Depth=2
	s_or_b64 exec, exec, s[58:59]
	v_cmp_lt_u32_e64 s[16:17], 3, v48
	s_and_saveexec_b64 s[58:59], s[16:17]
	s_cbranch_execnz .LBB10_150
.LBB10_140:                             ;   in Loop: Header=BB10_124 Depth=2
	s_or_b64 exec, exec, s[58:59]
	v_cmp_lt_u32_e64 s[16:17], 4, v48
	s_and_saveexec_b64 s[58:59], s[16:17]
	s_cbranch_execnz .LBB10_151
.LBB10_141:                             ;   in Loop: Header=BB10_124 Depth=2
	s_or_b64 exec, exec, s[58:59]
	v_cmp_lt_u32_e64 s[16:17], 5, v48
	s_and_saveexec_b64 s[58:59], s[16:17]
	s_cbranch_execnz .LBB10_152
.LBB10_142:                             ;   in Loop: Header=BB10_124 Depth=2
	s_or_b64 exec, exec, s[58:59]
	v_cmp_lt_u32_e64 s[16:17], 6, v48
	s_and_saveexec_b64 s[58:59], s[16:17]
	s_cbranch_execnz .LBB10_153
.LBB10_143:                             ;   in Loop: Header=BB10_124 Depth=2
	s_or_b64 exec, exec, s[58:59]
	s_and_saveexec_b64 s[16:17], vcc
	s_cbranch_execz .LBB10_145
.LBB10_144:                             ;   in Loop: Header=BB10_124 Depth=2
	v_lshrrev_b32_e32 v11, 24, v12
	flat_store_byte v[98:99], v11 offset:7
.LBB10_145:                             ;   in Loop: Header=BB10_124 Depth=2
	s_or_b64 exec, exec, s[16:17]
	s_mov_b64 s[16:17], 0
.LBB10_146:                             ;   in Loop: Header=BB10_124 Depth=2
	s_and_b64 vcc, exec, s[16:17]
	s_cbranch_vccz .LBB10_123
; %bb.147:                              ;   in Loop: Header=BB10_124 Depth=2
	v_mov_b32_e32 v11, v12
	global_store_dwordx2 v[98:99], v[10:11], off
	s_branch .LBB10_123
.LBB10_148:                             ;   in Loop: Header=BB10_124 Depth=2
	v_lshrrev_b32_e32 v11, 8, v10
	flat_store_byte v[98:99], v11 offset:1
	s_or_b64 exec, exec, s[58:59]
	v_cmp_lt_u32_e64 s[16:17], 2, v48
	s_and_saveexec_b64 s[58:59], s[16:17]
	s_cbranch_execz .LBB10_139
.LBB10_149:                             ;   in Loop: Header=BB10_124 Depth=2
	flat_store_byte_d16_hi v[98:99], v10 offset:2
	s_or_b64 exec, exec, s[58:59]
	v_cmp_lt_u32_e64 s[16:17], 3, v48
	s_and_saveexec_b64 s[58:59], s[16:17]
	s_cbranch_execz .LBB10_140
.LBB10_150:                             ;   in Loop: Header=BB10_124 Depth=2
	v_lshrrev_b32_e32 v11, 24, v10
	flat_store_byte v[98:99], v11 offset:3
	s_or_b64 exec, exec, s[58:59]
	v_cmp_lt_u32_e64 s[16:17], 4, v48
	s_and_saveexec_b64 s[58:59], s[16:17]
	s_cbranch_execz .LBB10_141
.LBB10_151:                             ;   in Loop: Header=BB10_124 Depth=2
	flat_store_byte v[98:99], v12 offset:4
	s_or_b64 exec, exec, s[58:59]
	v_cmp_lt_u32_e64 s[16:17], 5, v48
	s_and_saveexec_b64 s[58:59], s[16:17]
	s_cbranch_execz .LBB10_142
.LBB10_152:                             ;   in Loop: Header=BB10_124 Depth=2
	v_lshrrev_b32_e32 v11, 8, v12
	flat_store_byte v[98:99], v11 offset:5
	s_or_b64 exec, exec, s[58:59]
	v_cmp_lt_u32_e64 s[16:17], 6, v48
	s_and_saveexec_b64 s[58:59], s[16:17]
	s_cbranch_execz .LBB10_143
.LBB10_153:                             ;   in Loop: Header=BB10_124 Depth=2
	flat_store_byte_d16_hi v[98:99], v12 offset:6
	s_or_b64 exec, exec, s[58:59]
	s_and_saveexec_b64 s[16:17], vcc
	s_cbranch_execnz .LBB10_144
	s_branch .LBB10_145
.LBB10_154:                             ;   in Loop: Header=BB10_58 Depth=1
	v_lshl_add_u64 v[96:97], v[68:69], 0, v[10:11]
	v_and_b32_e32 v10, 7, v22
	v_mul_lo_u32 v10, v10, v114
	v_ashrrev_i32_e32 v11, 31, v10
	v_lshl_add_u64 v[98:99], v[10:11], 4, v[20:21]
	v_add_u32_e32 v48, 1, v22
	s_mov_b64 s[56:57], 0
	v_mov_b32_e32 v100, v0
	s_branch .LBB10_156
.LBB10_155:                             ;   in Loop: Header=BB10_156 Depth=2
	v_sub_u32_e32 v1, v1, v66
	v_cmp_gt_i32_e32 vcc, 1, v1
	v_lshl_add_u64 v[96:97], v[96:97], 0, v[66:67]
	s_or_b64 s[56:57], vcc, s[56:57]
	v_add_u32_e32 v100, v100, v2
	s_andn2_b64 exec, exec, s[56:57]
	s_cbranch_execz .LBB10_198
.LBB10_156:                             ;   Parent Loop BB10_58 Depth=1
                                        ; =>  This Loop Header: Depth=2
                                        ;       Child Loop BB10_160 Depth 3
	v_ashrrev_i32_e32 v101, 31, v100
	v_lshl_add_u64 v[102:103], v[100:101], 4, v[98:99]
	global_load_dwordx4 v[10:13], v[102:103], off nt
	v_cmp_eq_u32_e32 vcc, 0, v118
	v_mov_b32_e32 v118, 1
	s_and_saveexec_b64 s[58:59], vcc
	s_cbranch_execz .LBB10_168
; %bb.157:                              ;   in Loop: Header=BB10_156 Depth=2
	s_waitcnt vmcnt(0)
	v_cmp_ne_u32_e32 vcc, v48, v11
	v_cmp_ne_u32_e64 s[16:17], v48, v13
	s_or_b64 s[16:17], vcc, s[16:17]
	v_mov_b32_e32 v118, 0
	s_and_saveexec_b64 s[60:61], s[16:17]
	s_cbranch_execz .LBB10_167
; %bb.158:                              ;   in Loop: Header=BB10_156 Depth=2
	s_mov_b32 s88, 1
	s_mov_b64 s[72:73], 0
                                        ; implicit-def: $sgpr62_sgpr63
                                        ; implicit-def: $sgpr74_sgpr75
	s_branch .LBB10_160
.LBB10_159:                             ;   in Loop: Header=BB10_160 Depth=3
	s_or_b64 exec, exec, s[78:79]
	s_and_b64 s[16:17], exec, s[16:17]
	s_or_b64 s[72:73], s[16:17], s[72:73]
	s_andn2_b64 s[16:17], s[62:63], exec
	s_and_b64 s[62:63], s[74:75], exec
	s_or_b64 s[62:63], s[16:17], s[62:63]
	s_andn2_b64 exec, exec, s[72:73]
	s_cbranch_execz .LBB10_164
.LBB10_160:                             ;   Parent Loop BB10_58 Depth=1
                                        ;     Parent Loop BB10_156 Depth=2
                                        ; =>    This Inner Loop Header: Depth=3
	global_load_dwordx4 v[10:13], v[102:103], off nt
	s_add_i32 s88, s88, 1
	s_mov_b64 s[16:17], -1
	s_cmpk_lg_i32 s88, 0x2710
	s_mov_b64 s[76:77], -1
                                        ; implicit-def: $vgpr101
	s_cbranch_scc0 .LBB10_162
; %bb.161:                              ;   in Loop: Header=BB10_160 Depth=3
	s_or_b64 s[74:75], s[74:75], exec
	s_and_saveexec_b64 s[78:79], s[76:77]
	s_cbranch_execz .LBB10_159
	s_branch .LBB10_163
.LBB10_162:                             ;   in Loop: Header=BB10_160 Depth=3
	s_trap 2
	ds_read_b64 v[112:113], v0
	s_mov_b32 s88, 0
	s_waitcnt vmcnt(0) lgkmcnt(0)
	flat_load_dword v101, v[112:113] sc0 sc1
	s_waitcnt vmcnt(0) lgkmcnt(0)
	buffer_inv sc0 sc1
	v_cmp_eq_u32_e32 vcc, 0, v101
	s_orn2_b64 s[76:77], vcc, exec
	s_or_b64 s[74:75], s[74:75], exec
	s_and_saveexec_b64 s[78:79], s[76:77]
	s_cbranch_execz .LBB10_159
.LBB10_163:                             ;   in Loop: Header=BB10_160 Depth=3
	s_waitcnt vmcnt(0)
	v_cmp_eq_u32_e32 vcc, v48, v11
	v_cmp_eq_u32_e64 s[16:17], v48, v13
	s_and_b64 s[16:17], vcc, s[16:17]
	s_andn2_b64 s[74:75], s[74:75], exec
	s_orn2_b64 s[16:17], s[16:17], exec
	s_branch .LBB10_159
.LBB10_164:                             ;   in Loop: Header=BB10_156 Depth=2
	s_or_b64 exec, exec, s[72:73]
	v_mov_b32_e32 v118, 0
	s_and_saveexec_b64 s[16:17], s[62:63]
	s_xor_b64 s[16:17], exec, s[16:17]
	s_cbranch_execz .LBB10_166
; %bb.165:                              ;   in Loop: Header=BB10_156 Depth=2
	v_mov_b32_e32 v118, 1
	s_waitcnt lgkmcnt(0)
	ds_write_b32 v0, v101
	s_trap 2
.LBB10_166:                             ;   in Loop: Header=BB10_156 Depth=2
	s_or_b64 exec, exec, s[16:17]
.LBB10_167:                             ;   in Loop: Header=BB10_156 Depth=2
	s_or_b64 exec, exec, s[60:61]
.LBB10_168:                             ;   in Loop: Header=BB10_156 Depth=2
	s_or_b64 exec, exec, s[58:59]
	v_cmp_lt_u32_e32 vcc, 7, v1
	s_cmp_lg_u64 vcc, exec
	s_mov_b64 s[16:17], -1
	s_cbranch_scc0 .LBB10_178
; %bb.169:                              ;   in Loop: Header=BB10_156 Depth=2
	v_cmp_ne_u32_e64 s[16:17], 1, v1
	s_waitcnt vmcnt(0)
	flat_store_byte v[96:97], v10
	s_and_saveexec_b64 s[58:59], s[16:17]
	s_cbranch_execnz .LBB10_180
; %bb.170:                              ;   in Loop: Header=BB10_156 Depth=2
	s_or_b64 exec, exec, s[58:59]
	v_cmp_lt_u32_e64 s[16:17], 2, v1
	s_and_saveexec_b64 s[58:59], s[16:17]
	s_cbranch_execnz .LBB10_181
.LBB10_171:                             ;   in Loop: Header=BB10_156 Depth=2
	s_or_b64 exec, exec, s[58:59]
	v_cmp_lt_u32_e64 s[16:17], 3, v1
	s_and_saveexec_b64 s[58:59], s[16:17]
	s_cbranch_execnz .LBB10_182
.LBB10_172:                             ;   in Loop: Header=BB10_156 Depth=2
	s_or_b64 exec, exec, s[58:59]
	v_cmp_lt_u32_e64 s[16:17], 4, v1
	s_and_saveexec_b64 s[58:59], s[16:17]
	s_cbranch_execnz .LBB10_183
.LBB10_173:                             ;   in Loop: Header=BB10_156 Depth=2
	s_or_b64 exec, exec, s[58:59]
	v_cmp_lt_u32_e64 s[16:17], 5, v1
	s_and_saveexec_b64 s[58:59], s[16:17]
	s_cbranch_execnz .LBB10_184
.LBB10_174:                             ;   in Loop: Header=BB10_156 Depth=2
	s_or_b64 exec, exec, s[58:59]
	v_cmp_lt_u32_e64 s[16:17], 6, v1
	s_and_saveexec_b64 s[58:59], s[16:17]
	s_cbranch_execnz .LBB10_185
.LBB10_175:                             ;   in Loop: Header=BB10_156 Depth=2
	s_or_b64 exec, exec, s[58:59]
	s_and_saveexec_b64 s[16:17], vcc
	s_cbranch_execz .LBB10_177
.LBB10_176:                             ;   in Loop: Header=BB10_156 Depth=2
	v_lshrrev_b32_e32 v11, 24, v12
	flat_store_byte v[96:97], v11 offset:7
.LBB10_177:                             ;   in Loop: Header=BB10_156 Depth=2
	s_or_b64 exec, exec, s[16:17]
	s_mov_b64 s[16:17], 0
.LBB10_178:                             ;   in Loop: Header=BB10_156 Depth=2
	s_and_b64 vcc, exec, s[16:17]
	s_cbranch_vccz .LBB10_155
; %bb.179:                              ;   in Loop: Header=BB10_156 Depth=2
	s_waitcnt vmcnt(0)
	v_mov_b32_e32 v11, v12
	global_store_dwordx2 v[96:97], v[10:11], off
	s_branch .LBB10_155
.LBB10_180:                             ;   in Loop: Header=BB10_156 Depth=2
	v_lshrrev_b32_e32 v11, 8, v10
	flat_store_byte v[96:97], v11 offset:1
	s_or_b64 exec, exec, s[58:59]
	v_cmp_lt_u32_e64 s[16:17], 2, v1
	s_and_saveexec_b64 s[58:59], s[16:17]
	s_cbranch_execz .LBB10_171
.LBB10_181:                             ;   in Loop: Header=BB10_156 Depth=2
	flat_store_byte_d16_hi v[96:97], v10 offset:2
	s_or_b64 exec, exec, s[58:59]
	v_cmp_lt_u32_e64 s[16:17], 3, v1
	s_and_saveexec_b64 s[58:59], s[16:17]
	s_cbranch_execz .LBB10_172
.LBB10_182:                             ;   in Loop: Header=BB10_156 Depth=2
	v_lshrrev_b32_e32 v11, 24, v10
	flat_store_byte v[96:97], v11 offset:3
	s_or_b64 exec, exec, s[58:59]
	v_cmp_lt_u32_e64 s[16:17], 4, v1
	s_and_saveexec_b64 s[58:59], s[16:17]
	s_cbranch_execz .LBB10_173
.LBB10_183:                             ;   in Loop: Header=BB10_156 Depth=2
	flat_store_byte v[96:97], v12 offset:4
	s_or_b64 exec, exec, s[58:59]
	v_cmp_lt_u32_e64 s[16:17], 5, v1
	s_and_saveexec_b64 s[58:59], s[16:17]
	s_cbranch_execz .LBB10_174
.LBB10_184:                             ;   in Loop: Header=BB10_156 Depth=2
	v_lshrrev_b32_e32 v11, 8, v12
	flat_store_byte v[96:97], v11 offset:5
	s_or_b64 exec, exec, s[58:59]
	v_cmp_lt_u32_e64 s[16:17], 6, v1
	s_and_saveexec_b64 s[58:59], s[16:17]
	s_cbranch_execz .LBB10_175
.LBB10_185:                             ;   in Loop: Header=BB10_156 Depth=2
	flat_store_byte_d16_hi v[96:97], v12 offset:6
	s_or_b64 exec, exec, s[58:59]
	s_and_saveexec_b64 s[16:17], vcc
	s_cbranch_execnz .LBB10_176
	s_branch .LBB10_177
.LBB10_186:                             ;   in Loop: Header=BB10_58 Depth=1
	s_or_b64 exec, exec, s[56:57]
	s_or_b64 exec, exec, s[46:47]
	s_and_saveexec_b64 s[16:17], s[10:11]
	s_cbranch_execz .LBB10_97
.LBB10_187:                             ;   in Loop: Header=BB10_58 Depth=1
	s_and_saveexec_b64 s[46:47], s[26:27]
	s_xor_b64 s[46:47], exec, s[46:47]
	s_cbranch_execz .LBB10_232
; %bb.188:                              ;   in Loop: Header=BB10_58 Depth=1
	s_and_saveexec_b64 s[56:57], s[12:13]
	s_cbranch_execz .LBB10_231
; %bb.189:                              ;   in Loop: Header=BB10_58 Depth=1
	s_mov_b64 s[60:61], exec
	v_mbcnt_lo_u32_b32 v1, s60, 0
	v_mbcnt_hi_u32_b32 v1, s61, v1
	v_cmp_eq_u32_e32 vcc, 0, v1
	buffer_wbl2 sc1
	s_waitcnt vmcnt(0) lgkmcnt(0)
	buffer_inv sc1
	s_and_saveexec_b64 s[58:59], vcc
	s_cbranch_execz .LBB10_191
; %bb.190:                              ;   in Loop: Header=BB10_58 Depth=1
	s_bcnt1_i32_b64 s60, s[60:61]
	v_mov_b32_e32 v48, s60
	ds_add_u64 v0, v[48:49]
	s_trap 2
.LBB10_191:                             ;   in Loop: Header=BB10_58 Depth=1
	s_or_b64 exec, exec, s[58:59]
	s_trap 2
	ds_read_b64 v[10:11], v0
	s_waitcnt lgkmcnt(0)
	v_lshl_add_u64 v[34:35], v[34:35], 0, v[54:55]
	v_cmp_lt_u64_e32 vcc, v[10:11], v[34:35]
	s_and_saveexec_b64 s[58:59], vcc
	s_cbranch_execz .LBB10_230
; %bb.192:                              ;   in Loop: Header=BB10_58 Depth=1
	s_mov_b32 s88, 0
	s_mov_b64 s[60:61], 0
                                        ; implicit-def: $sgpr62_sgpr63
                                        ; implicit-def: $sgpr72_sgpr73
	s_branch .LBB10_194
.LBB10_193:                             ;   in Loop: Header=BB10_194 Depth=2
	s_or_b64 exec, exec, s[76:77]
	s_and_b64 s[74:75], exec, s[78:79]
	s_or_b64 s[60:61], s[74:75], s[60:61]
	s_andn2_b64 s[62:63], s[62:63], exec
	s_and_b64 s[74:75], s[72:73], exec
	s_or_b64 s[62:63], s[62:63], s[74:75]
	s_andn2_b64 exec, exec, s[60:61]
	s_cbranch_execz .LBB10_228
.LBB10_194:                             ;   Parent Loop BB10_58 Depth=1
                                        ; =>  This Inner Loop Header: Depth=2
	s_add_i32 s88, s88, 1
	s_cmpk_lg_i32 s88, 0x2710
	s_cselect_b64 s[74:75], -1, 0
	s_and_b64 vcc, exec, s[74:75]
	s_cbranch_vccz .LBB10_196
; %bb.195:                              ;   in Loop: Header=BB10_194 Depth=2
	s_mov_b64 s[78:79], -1
	s_or_b64 s[72:73], s[72:73], exec
	s_and_saveexec_b64 s[76:77], s[74:75]
	s_cbranch_execz .LBB10_193
	s_branch .LBB10_197
.LBB10_196:                             ;   in Loop: Header=BB10_194 Depth=2
	s_trap 2
	ds_read_b64 v[10:11], v0
	s_andn2_b64 s[74:75], s[74:75], exec
	s_mov_b32 s88, 0
	s_waitcnt lgkmcnt(0)
	flat_load_dword v1, v[10:11] sc0 sc1
	s_waitcnt vmcnt(0) lgkmcnt(0)
	buffer_inv sc0 sc1
	v_cmp_eq_u32_e32 vcc, 0, v1
	s_and_b64 s[76:77], vcc, exec
	s_or_b64 s[74:75], s[74:75], s[76:77]
	s_mov_b64 s[78:79], -1
	s_or_b64 s[72:73], s[72:73], exec
	s_and_saveexec_b64 s[76:77], s[74:75]
	s_cbranch_execz .LBB10_193
.LBB10_197:                             ;   in Loop: Header=BB10_194 Depth=2
	s_sleep 1
	s_trap 2
	ds_read_b64 v[10:11], v0
	s_waitcnt lgkmcnt(0)
	s_andn2_b64 s[72:73], s[72:73], exec
	v_cmp_ge_u64_e32 vcc, v[10:11], v[34:35]
	s_orn2_b64 s[78:79], vcc, exec
	s_branch .LBB10_193
.LBB10_198:                             ;   in Loop: Header=BB10_58 Depth=1
	s_or_b64 exec, exec, s[56:57]
	s_or_b64 exec, exec, s[46:47]
	s_and_saveexec_b64 s[16:17], s[10:11]
	s_cbranch_execz .LBB10_106
.LBB10_199:                             ;   in Loop: Header=BB10_58 Depth=1
	s_and_saveexec_b64 s[46:47], s[26:27]
	s_xor_b64 s[46:47], exec, s[46:47]
	s_cbranch_execz .LBB10_239
; %bb.200:                              ;   in Loop: Header=BB10_58 Depth=1
	s_and_saveexec_b64 s[56:57], s[12:13]
	s_cbranch_execz .LBB10_238
; %bb.201:                              ;   in Loop: Header=BB10_58 Depth=1
	s_mov_b64 s[60:61], exec
	v_mbcnt_lo_u32_b32 v1, s60, 0
	v_mbcnt_hi_u32_b32 v1, s61, v1
	v_cmp_eq_u32_e32 vcc, 0, v1
	buffer_wbl2 sc1
	s_waitcnt vmcnt(0) lgkmcnt(0)
	buffer_inv sc1
	s_and_saveexec_b64 s[58:59], vcc
	s_cbranch_execz .LBB10_203
; %bb.202:                              ;   in Loop: Header=BB10_58 Depth=1
	s_bcnt1_i32_b64 s60, s[60:61]
	v_mov_b32_e32 v48, s60
	ds_add_u64 v0, v[48:49]
	s_trap 2
.LBB10_203:                             ;   in Loop: Header=BB10_58 Depth=1
	s_or_b64 exec, exec, s[58:59]
	s_trap 2
	ds_read_b64 v[10:11], v0
	s_waitcnt lgkmcnt(0)
	v_lshl_add_u64 v[34:35], v[34:35], 0, v[54:55]
	v_cmp_lt_u64_e32 vcc, v[10:11], v[34:35]
	s_and_saveexec_b64 s[58:59], vcc
	s_cbranch_execz .LBB10_237
; %bb.204:                              ;   in Loop: Header=BB10_58 Depth=1
	s_mov_b32 s88, 0
	s_mov_b64 s[60:61], 0
                                        ; implicit-def: $sgpr62_sgpr63
                                        ; implicit-def: $sgpr72_sgpr73
	s_branch .LBB10_206
.LBB10_205:                             ;   in Loop: Header=BB10_206 Depth=2
	s_or_b64 exec, exec, s[76:77]
	s_and_b64 s[74:75], exec, s[78:79]
	s_or_b64 s[60:61], s[74:75], s[60:61]
	s_andn2_b64 s[62:63], s[62:63], exec
	s_and_b64 s[74:75], s[72:73], exec
	s_or_b64 s[62:63], s[62:63], s[74:75]
	s_andn2_b64 exec, exec, s[60:61]
	s_cbranch_execz .LBB10_235
.LBB10_206:                             ;   Parent Loop BB10_58 Depth=1
                                        ; =>  This Inner Loop Header: Depth=2
	s_add_i32 s88, s88, 1
	s_cmpk_lg_i32 s88, 0x2710
	s_cselect_b64 s[74:75], -1, 0
	s_and_b64 vcc, exec, s[74:75]
	s_cbranch_vccz .LBB10_208
; %bb.207:                              ;   in Loop: Header=BB10_206 Depth=2
	s_mov_b64 s[78:79], -1
	s_or_b64 s[72:73], s[72:73], exec
	s_and_saveexec_b64 s[76:77], s[74:75]
	s_cbranch_execz .LBB10_205
	s_branch .LBB10_209
.LBB10_208:                             ;   in Loop: Header=BB10_206 Depth=2
	s_trap 2
	ds_read_b64 v[10:11], v0
	s_andn2_b64 s[74:75], s[74:75], exec
	s_mov_b32 s88, 0
	s_waitcnt lgkmcnt(0)
	flat_load_dword v1, v[10:11] sc0 sc1
	s_waitcnt vmcnt(0) lgkmcnt(0)
	buffer_inv sc0 sc1
	v_cmp_eq_u32_e32 vcc, 0, v1
	s_and_b64 s[76:77], vcc, exec
	s_or_b64 s[74:75], s[74:75], s[76:77]
	s_mov_b64 s[78:79], -1
	s_or_b64 s[72:73], s[72:73], exec
	s_and_saveexec_b64 s[76:77], s[74:75]
	s_cbranch_execz .LBB10_205
.LBB10_209:                             ;   in Loop: Header=BB10_206 Depth=2
	s_sleep 1
	s_trap 2
	ds_read_b64 v[10:11], v0
	s_waitcnt lgkmcnt(0)
	s_andn2_b64 s[72:73], s[72:73], exec
	v_cmp_ge_u64_e32 vcc, v[10:11], v[34:35]
	s_orn2_b64 s[78:79], vcc, exec
	s_branch .LBB10_205
.LBB10_210:                             ;   in Loop: Header=BB10_58 Depth=1
	s_or_b64 exec, exec, s[58:59]
	s_xor_b64 s[16:17], s[60:61], -1
	s_and_saveexec_b64 s[58:59], s[16:17]
	s_xor_b64 s[16:17], exec, s[58:59]
	s_cbranch_execz .LBB10_212
; %bb.211:                              ;   in Loop: Header=BB10_58 Depth=1
	v_mov_b32_e32 v118, 1
	s_waitcnt lgkmcnt(0)
	ds_write_b32 v0, v9
	s_trap 2
.LBB10_212:                             ;   in Loop: Header=BB10_58 Depth=1
	s_or_b64 exec, exec, s[16:17]
.LBB10_213:                             ;   in Loop: Header=BB10_58 Depth=1
	s_or_b64 exec, exec, s[56:57]
	s_and_saveexec_b64 s[16:17], s[8:9]
	s_cbranch_execz .LBB10_215
; %bb.214:                              ;   in Loop: Header=BB10_58 Depth=1
	v_and_b32_e32 v48, 0x7ffffff8, v8
	v_cmp_eq_u64_e32 vcc, s[40:41], v[48:49]
	v_and_b32_e32 v8, 7, v8
	s_nop 0
	v_cndmask_b32_e32 v9, v12, v114, vcc
	v_lshlrev_b32_e32 v12, 4, v9
	v_ashrrev_i32_e32 v13, 31, v12
	v_mad_u64_u32 v[8:9], s[56:57], v8, 24, v[6:7]
	flat_store_dwordx2 v[8:9], v[12:13] offset:8 sc0 sc1
	s_waitcnt vmcnt(0)
.LBB10_215:                             ;   in Loop: Header=BB10_58 Depth=1
	s_or_b64 exec, exec, s[16:17]
	v_mov_b64_e32 v[8:9], v[10:11]
.LBB10_216:                             ;   in Loop: Header=BB10_58 Depth=1
	s_or_b64 exec, exec, s[46:47]
	s_and_saveexec_b64 s[16:17], s[10:11]
	s_cbranch_execz .LBB10_249
; %bb.217:                              ;   in Loop: Header=BB10_58 Depth=1
	s_and_saveexec_b64 s[46:47], s[26:27]
	s_xor_b64 s[46:47], exec, s[46:47]
	s_cbranch_execz .LBB10_246
; %bb.218:                              ;   in Loop: Header=BB10_58 Depth=1
	s_and_saveexec_b64 s[56:57], s[12:13]
	s_cbranch_execz .LBB10_245
; %bb.219:                              ;   in Loop: Header=BB10_58 Depth=1
	s_mov_b64 s[60:61], exec
	v_mbcnt_lo_u32_b32 v10, s60, 0
	v_mbcnt_hi_u32_b32 v10, s61, v10
	v_cmp_eq_u32_e32 vcc, 0, v10
	buffer_wbl2 sc1
	s_waitcnt vmcnt(0) lgkmcnt(0)
	buffer_inv sc1
	s_and_saveexec_b64 s[58:59], vcc
	s_cbranch_execz .LBB10_221
; %bb.220:                              ;   in Loop: Header=BB10_58 Depth=1
	s_bcnt1_i32_b64 s60, s[60:61]
	v_mov_b32_e32 v48, s60
	ds_add_u64 v0, v[48:49]
	s_trap 2
.LBB10_221:                             ;   in Loop: Header=BB10_58 Depth=1
	s_or_b64 exec, exec, s[58:59]
	s_trap 2
	ds_read_b64 v[10:11], v0
	s_waitcnt lgkmcnt(0)
	v_lshl_add_u64 v[34:35], v[34:35], 0, v[54:55]
	v_cmp_lt_u64_e32 vcc, v[10:11], v[34:35]
	s_and_saveexec_b64 s[58:59], vcc
	s_cbranch_execz .LBB10_244
; %bb.222:                              ;   in Loop: Header=BB10_58 Depth=1
	s_mov_b32 s88, 0
	s_mov_b64 s[60:61], 0
                                        ; implicit-def: $sgpr62_sgpr63
                                        ; implicit-def: $sgpr72_sgpr73
	s_branch .LBB10_224
.LBB10_223:                             ;   in Loop: Header=BB10_224 Depth=2
	s_or_b64 exec, exec, s[76:77]
	s_and_b64 s[74:75], exec, s[78:79]
	s_or_b64 s[60:61], s[74:75], s[60:61]
	s_andn2_b64 s[62:63], s[62:63], exec
	s_and_b64 s[74:75], s[72:73], exec
	s_or_b64 s[62:63], s[62:63], s[74:75]
	s_andn2_b64 exec, exec, s[60:61]
	s_cbranch_execz .LBB10_242
.LBB10_224:                             ;   Parent Loop BB10_58 Depth=1
                                        ; =>  This Inner Loop Header: Depth=2
	s_add_i32 s88, s88, 1
	s_cmpk_lg_i32 s88, 0x2710
	s_cselect_b64 s[74:75], -1, 0
	s_and_b64 vcc, exec, s[74:75]
	s_cbranch_vccz .LBB10_226
; %bb.225:                              ;   in Loop: Header=BB10_224 Depth=2
	s_mov_b64 s[78:79], -1
	s_or_b64 s[72:73], s[72:73], exec
	s_and_saveexec_b64 s[76:77], s[74:75]
	s_cbranch_execz .LBB10_223
	s_branch .LBB10_227
.LBB10_226:                             ;   in Loop: Header=BB10_224 Depth=2
	s_trap 2
	ds_read_b64 v[10:11], v0
	s_andn2_b64 s[74:75], s[74:75], exec
	s_mov_b32 s88, 0
	s_waitcnt lgkmcnt(0)
	flat_load_dword v10, v[10:11] sc0 sc1
	s_waitcnt vmcnt(0) lgkmcnt(0)
	buffer_inv sc0 sc1
	v_cmp_eq_u32_e32 vcc, 0, v10
	s_and_b64 s[76:77], vcc, exec
	s_or_b64 s[74:75], s[74:75], s[76:77]
	s_mov_b64 s[78:79], -1
	s_or_b64 s[72:73], s[72:73], exec
	s_and_saveexec_b64 s[76:77], s[74:75]
	s_cbranch_execz .LBB10_223
.LBB10_227:                             ;   in Loop: Header=BB10_224 Depth=2
	s_sleep 1
	s_trap 2
	ds_read_b64 v[10:11], v0
	s_waitcnt lgkmcnt(0)
	s_andn2_b64 s[72:73], s[72:73], exec
	v_cmp_ge_u64_e32 vcc, v[10:11], v[34:35]
	s_orn2_b64 s[78:79], vcc, exec
	s_branch .LBB10_223
.LBB10_228:                             ;   in Loop: Header=BB10_58 Depth=1
	s_or_b64 exec, exec, s[60:61]
	s_and_saveexec_b64 s[60:61], s[62:63]
	s_xor_b64 s[60:61], exec, s[60:61]
	s_cbranch_execz .LBB10_230
; %bb.229:                              ;   in Loop: Header=BB10_58 Depth=1
	ds_write_b32 v0, v117
	s_trap 2
.LBB10_230:                             ;   in Loop: Header=BB10_58 Depth=1
	s_or_b64 exec, exec, s[58:59]
	;;#ASMSTART
	s_wakeup
	;;#ASMEND
.LBB10_231:                             ;   in Loop: Header=BB10_58 Depth=1
	s_or_b64 exec, exec, s[56:57]
.LBB10_232:                             ;   in Loop: Header=BB10_58 Depth=1
	s_andn2_saveexec_b64 s[46:47], s[46:47]
	s_cbranch_execz .LBB10_234
; %bb.233:                              ;   in Loop: Header=BB10_58 Depth=1
	buffer_wbl2 sc1
	s_waitcnt vmcnt(0) lgkmcnt(0)
	buffer_inv sc1
	s_barrier
.LBB10_234:                             ;   in Loop: Header=BB10_58 Depth=1
	s_or_b64 exec, exec, s[46:47]
	s_or_b64 exec, exec, s[16:17]
	s_and_saveexec_b64 s[16:17], s[14:15]
	s_cbranch_execnz .LBB10_98
	s_branch .LBB10_99
.LBB10_235:                             ;   in Loop: Header=BB10_58 Depth=1
	s_or_b64 exec, exec, s[60:61]
	s_and_saveexec_b64 s[60:61], s[62:63]
	s_xor_b64 s[60:61], exec, s[60:61]
	s_cbranch_execz .LBB10_237
; %bb.236:                              ;   in Loop: Header=BB10_58 Depth=1
	ds_write_b32 v0, v117
	s_trap 2
.LBB10_237:                             ;   in Loop: Header=BB10_58 Depth=1
	s_or_b64 exec, exec, s[58:59]
	;;#ASMSTART
	s_wakeup
	;;#ASMEND
.LBB10_238:                             ;   in Loop: Header=BB10_58 Depth=1
	s_or_b64 exec, exec, s[56:57]
.LBB10_239:                             ;   in Loop: Header=BB10_58 Depth=1
	s_andn2_saveexec_b64 s[46:47], s[46:47]
	s_cbranch_execz .LBB10_241
; %bb.240:                              ;   in Loop: Header=BB10_58 Depth=1
	buffer_wbl2 sc1
	s_waitcnt vmcnt(0) lgkmcnt(0)
	buffer_inv sc1
	s_barrier
.LBB10_241:                             ;   in Loop: Header=BB10_58 Depth=1
	s_or_b64 exec, exec, s[46:47]
	s_or_b64 exec, exec, s[16:17]
	s_and_saveexec_b64 s[16:17], s[14:15]
	s_cbranch_execnz .LBB10_107
	s_branch .LBB10_108
.LBB10_242:                             ;   in Loop: Header=BB10_58 Depth=1
	s_or_b64 exec, exec, s[60:61]
	s_and_saveexec_b64 s[60:61], s[62:63]
	s_xor_b64 s[60:61], exec, s[60:61]
	s_cbranch_execz .LBB10_244
; %bb.243:                              ;   in Loop: Header=BB10_58 Depth=1
	ds_write_b32 v0, v117
	s_trap 2
.LBB10_244:                             ;   in Loop: Header=BB10_58 Depth=1
	s_or_b64 exec, exec, s[58:59]
	;;#ASMSTART
	s_wakeup
	;;#ASMEND
.LBB10_245:                             ;   in Loop: Header=BB10_58 Depth=1
	s_or_b64 exec, exec, s[56:57]
.LBB10_246:                             ;   in Loop: Header=BB10_58 Depth=1
	s_andn2_saveexec_b64 s[46:47], s[46:47]
	s_cbranch_execz .LBB10_248
; %bb.247:                              ;   in Loop: Header=BB10_58 Depth=1
	buffer_wbl2 sc1
	s_waitcnt vmcnt(0) lgkmcnt(0)
	buffer_inv sc1
	s_barrier
.LBB10_248:                             ;   in Loop: Header=BB10_58 Depth=1
	s_or_b64 exec, exec, s[46:47]
.LBB10_249:                             ;   in Loop: Header=BB10_58 Depth=1
	s_or_b64 exec, exec, s[16:17]
	v_sub_u32_e32 v97, v1, v64
	v_cmp_lt_i32_e32 vcc, 0, v97
	v_mov_b32_e32 v96, v0
	s_and_saveexec_b64 s[46:47], vcc
	s_cbranch_execz .LBB10_275
; %bb.250:                              ;   in Loop: Header=BB10_58 Depth=1
	v_and_b32_e32 v10, 7, v26
	v_mul_lo_u32 v12, v10, v114
	v_ashrrev_i32_e32 v13, 31, v12
	v_add_u32_e32 v11, 1, v26
	v_add_u32_e32 v1, v3, v1
	v_lshl_add_u64 v[98:99], v[12:13], 4, v[84:85]
	s_mov_b64 s[56:57], 0
	v_mov_b64_e32 v[100:101], 0
	v_mov_b32_e32 v112, v65
	v_mov_b32_e32 v96, v0
	s_branch .LBB10_252
.LBB10_251:                             ;   in Loop: Header=BB10_252 Depth=2
	v_sub_u32_e32 v97, v97, v66
	v_cmp_gt_i32_e32 vcc, 1, v97
	v_add_u32_e32 v96, v96, v2
	v_lshl_add_u64 v[100:101], v[100:101], 0, v[66:67]
	v_add_u32_e32 v112, v112, v116
	s_or_b64 s[56:57], vcc, s[56:57]
	v_lshl_add_u64 v[98:99], v[98:99], 0, v[70:71]
	s_andn2_b64 exec, exec, s[56:57]
	s_cbranch_execz .LBB10_274
.LBB10_252:                             ;   Parent Loop BB10_58 Depth=1
                                        ; =>  This Inner Loop Header: Depth=2
	v_lshl_add_u64 v[102:103], v[80:81], 0, v[100:101]
	v_and_b32_e32 v12, -4, v102
	v_mov_b32_e32 v13, v103
	global_load_dword v10, v[12:13], off nt
	v_min_u32_e32 v48, 8, v97
	v_and_b32_e32 v102, 3, v102
	v_add_u32_e32 v48, v102, v48
	v_cmp_lt_u32_e32 vcc, 4, v48
	v_mov_b32_e32 v113, 0
	v_mov_b32_e32 v119, 0
	s_and_saveexec_b64 s[16:17], vcc
	s_cbranch_execz .LBB10_254
; %bb.253:                              ;   in Loop: Header=BB10_252 Depth=2
	global_load_dword v119, v[12:13], off offset:4 nt
.LBB10_254:                             ;   in Loop: Header=BB10_252 Depth=2
	s_or_b64 exec, exec, s[16:17]
	v_cmp_lt_u64_e32 vcc, 8, v[48:49]
	s_and_saveexec_b64 s[16:17], vcc
	s_cbranch_execz .LBB10_256
; %bb.255:                              ;   in Loop: Header=BB10_252 Depth=2
	global_load_dword v113, v[12:13], off offset:8 nt
.LBB10_256:                             ;   in Loop: Header=BB10_252 Depth=2
	s_or_b64 exec, exec, s[16:17]
	v_cmp_lt_u32_e32 vcc, 7, v97
	v_lshl_add_u64 v[102:103], v[82:83], 0, v[100:101]
	s_waitcnt vmcnt(0)
	v_alignbit_b32 v10, v119, v10, v112
	v_alignbit_b32 v12, v113, v119, v112
	v_mov_b32_e32 v13, v11
	s_cmp_lg_u64 vcc, exec
	s_mov_b64 s[16:17], -1
	global_store_dwordx4 v[98:99], v[10:13], off
	buffer_wbl2 sc0 sc1
	s_waitcnt vmcnt(0) lgkmcnt(0)
	s_cbranch_scc0 .LBB10_266
; %bb.257:                              ;   in Loop: Header=BB10_252 Depth=2
	v_cmp_ne_u32_e64 s[16:17], v1, v100
	flat_store_byte v[102:103], v10
	s_and_saveexec_b64 s[58:59], s[16:17]
	s_cbranch_execnz .LBB10_268
; %bb.258:                              ;   in Loop: Header=BB10_252 Depth=2
	s_or_b64 exec, exec, s[58:59]
	v_cmp_lt_u32_e64 s[16:17], 2, v97
	s_and_saveexec_b64 s[58:59], s[16:17]
	s_cbranch_execnz .LBB10_269
.LBB10_259:                             ;   in Loop: Header=BB10_252 Depth=2
	s_or_b64 exec, exec, s[58:59]
	v_cmp_lt_u32_e64 s[16:17], 3, v97
	s_and_saveexec_b64 s[58:59], s[16:17]
	s_cbranch_execnz .LBB10_270
.LBB10_260:                             ;   in Loop: Header=BB10_252 Depth=2
	s_or_b64 exec, exec, s[58:59]
	v_cmp_lt_u32_e64 s[16:17], 4, v97
	s_and_saveexec_b64 s[58:59], s[16:17]
	s_cbranch_execnz .LBB10_271
.LBB10_261:                             ;   in Loop: Header=BB10_252 Depth=2
	s_or_b64 exec, exec, s[58:59]
	v_cmp_lt_u32_e64 s[16:17], 5, v97
	s_and_saveexec_b64 s[58:59], s[16:17]
	s_cbranch_execnz .LBB10_272
.LBB10_262:                             ;   in Loop: Header=BB10_252 Depth=2
	s_or_b64 exec, exec, s[58:59]
	v_cmp_lt_u32_e64 s[16:17], 6, v97
	s_and_saveexec_b64 s[58:59], s[16:17]
	s_cbranch_execnz .LBB10_273
.LBB10_263:                             ;   in Loop: Header=BB10_252 Depth=2
	s_or_b64 exec, exec, s[58:59]
	s_and_saveexec_b64 s[16:17], vcc
	s_cbranch_execz .LBB10_265
.LBB10_264:                             ;   in Loop: Header=BB10_252 Depth=2
	v_lshrrev_b32_e32 v13, 24, v12
	flat_store_byte v[102:103], v13 offset:7
.LBB10_265:                             ;   in Loop: Header=BB10_252 Depth=2
	s_or_b64 exec, exec, s[16:17]
	s_mov_b64 s[16:17], 0
.LBB10_266:                             ;   in Loop: Header=BB10_252 Depth=2
	s_and_b64 vcc, exec, s[16:17]
	s_cbranch_vccz .LBB10_251
; %bb.267:                              ;   in Loop: Header=BB10_252 Depth=2
	v_mov_b32_e32 v40, v10
	v_mov_b32_e32 v41, v12
	global_store_dwordx2 v[102:103], v[40:41], off
	s_branch .LBB10_251
.LBB10_268:                             ;   in Loop: Header=BB10_252 Depth=2
	v_lshrrev_b32_e32 v13, 8, v10
	flat_store_byte v[102:103], v13 offset:1
	s_or_b64 exec, exec, s[58:59]
	v_cmp_lt_u32_e64 s[16:17], 2, v97
	s_and_saveexec_b64 s[58:59], s[16:17]
	s_cbranch_execz .LBB10_259
.LBB10_269:                             ;   in Loop: Header=BB10_252 Depth=2
	flat_store_byte_d16_hi v[102:103], v10 offset:2
	s_or_b64 exec, exec, s[58:59]
	v_cmp_lt_u32_e64 s[16:17], 3, v97
	s_and_saveexec_b64 s[58:59], s[16:17]
	s_cbranch_execz .LBB10_260
.LBB10_270:                             ;   in Loop: Header=BB10_252 Depth=2
	v_lshrrev_b32_e32 v13, 24, v10
	flat_store_byte v[102:103], v13 offset:3
	s_or_b64 exec, exec, s[58:59]
	v_cmp_lt_u32_e64 s[16:17], 4, v97
	s_and_saveexec_b64 s[58:59], s[16:17]
	s_cbranch_execz .LBB10_261
.LBB10_271:                             ;   in Loop: Header=BB10_252 Depth=2
	flat_store_byte v[102:103], v12 offset:4
	s_or_b64 exec, exec, s[58:59]
	v_cmp_lt_u32_e64 s[16:17], 5, v97
	s_and_saveexec_b64 s[58:59], s[16:17]
	s_cbranch_execz .LBB10_262
.LBB10_272:                             ;   in Loop: Header=BB10_252 Depth=2
	v_lshrrev_b32_e32 v13, 8, v12
	flat_store_byte v[102:103], v13 offset:5
	s_or_b64 exec, exec, s[58:59]
	v_cmp_lt_u32_e64 s[16:17], 6, v97
	s_and_saveexec_b64 s[58:59], s[16:17]
	s_cbranch_execz .LBB10_263
.LBB10_273:                             ;   in Loop: Header=BB10_252 Depth=2
	flat_store_byte_d16_hi v[102:103], v12 offset:6
	s_or_b64 exec, exec, s[58:59]
	s_and_saveexec_b64 s[16:17], vcc
	s_cbranch_execnz .LBB10_264
	s_branch .LBB10_265
.LBB10_274:                             ;   in Loop: Header=BB10_58 Depth=1
	s_or_b64 exec, exec, s[56:57]
.LBB10_275:                             ;   in Loop: Header=BB10_58 Depth=1
	s_or_b64 exec, exec, s[46:47]
	v_and_b32_e32 v48, 0x7ffffff8, v26
	v_cmp_eq_u64_e32 vcc, s[40:41], v[48:49]
	v_cmp_lt_i32_e64 s[16:17], v96, v114
	s_and_b64 s[46:47], vcc, s[16:17]
	s_and_saveexec_b64 s[16:17], s[46:47]
	s_cbranch_execz .LBB10_278
; %bb.276:                              ;   in Loop: Header=BB10_58 Depth=1
	v_and_b32_e32 v1, 7, v26
	v_mul_lo_u32 v12, v1, v114
	v_ashrrev_i32_e32 v13, 31, v12
	v_ashrrev_i32_e32 v97, 31, v96
	v_lshlrev_b64 v[12:13], 4, v[12:13]
	v_lshl_add_u64 v[12:13], v[96:97], 4, v[12:13]
	v_add_u32_e32 v11, 1, v26
	v_mov_b32_e32 v10, v49
	v_lshl_add_u64 v[98:99], v[24:25], 0, v[12:13]
	s_mov_b64 s[46:47], 0
.LBB10_277:                             ;   Parent Loop BB10_58 Depth=1
                                        ; =>  This Inner Loop Header: Depth=2
	v_add_u32_e32 v96, v96, v2
	v_mov_b32_e32 v12, v10
	v_mov_b32_e32 v13, v11
	v_cmp_ge_i32_e32 vcc, v96, v114
	global_store_dwordx4 v[98:99], v[10:13], off
	s_or_b64 s[46:47], vcc, s[46:47]
	v_lshl_add_u64 v[98:99], v[98:99], 0, v[70:71]
	buffer_wbl2 sc0 sc1
	s_waitcnt vmcnt(0) lgkmcnt(0)
	s_andn2_b64 exec, exec, s[46:47]
	s_cbranch_execnz .LBB10_277
.LBB10_278:                             ;   in Loop: Header=BB10_58 Depth=1
	s_or_b64 exec, exec, s[16:17]
	v_lshl_add_u64 v[26:27], v[26:27], 0, 1
                                        ; implicit-def: $vgpr1
                                        ; implicit-def: $vgpr12
.LBB10_279:                             ;   in Loop: Header=BB10_58 Depth=1
	s_andn2_saveexec_b64 s[44:45], s[44:45]
	s_cbranch_execz .LBB10_56
; %bb.280:                              ;   in Loop: Header=BB10_58 Depth=1
	s_and_saveexec_b64 s[46:47], s[6:7]
	s_cbranch_execz .LBB10_296
; %bb.281:                              ;   in Loop: Header=BB10_58 Depth=1
	v_lshl_add_u64 v[10:11], v[8:9], 0, 1
	s_waitcnt vmcnt(0) lgkmcnt(0)
	v_lshl_add_u64 v[96:97], v[52:53], 0, 8
	v_cmp_lt_u64_e32 vcc, v[96:97], v[10:11]
	s_and_saveexec_b64 s[56:57], vcc
	s_cbranch_execz .LBB10_293
; %bb.282:                              ;   in Loop: Header=BB10_58 Depth=1
	s_mov_b32 s92, 0
	v_cmp_eq_u32_e32 vcc, 0, v118
	s_mov_b64 s[58:59], 0
                                        ; implicit-def: $sgpr60_sgpr61
                                        ; implicit-def: $sgpr62_sgpr63
                                        ; implicit-def: $sgpr72_sgpr73
	s_branch .LBB10_285
.LBB10_283:                             ;   in Loop: Header=BB10_285 Depth=2
	s_or_b64 exec, exec, s[90:91]
	s_andn2_b64 s[16:17], s[72:73], exec
	s_and_b64 s[72:73], s[78:79], exec
	s_or_b64 s[72:73], s[16:17], s[72:73]
	s_andn2_b64 s[16:17], s[62:63], exec
	s_and_b64 s[62:63], s[76:77], exec
	s_or_b64 s[62:63], s[16:17], s[62:63]
.LBB10_284:                             ;   in Loop: Header=BB10_285 Depth=2
	s_or_b64 exec, exec, s[74:75]
	s_and_b64 s[16:17], exec, s[62:63]
	s_or_b64 s[58:59], s[16:17], s[58:59]
	s_andn2_b64 s[16:17], s[60:61], exec
	s_and_b64 s[60:61], s[72:73], exec
	s_or_b64 s[60:61], s[16:17], s[60:61]
	s_andn2_b64 exec, exec, s[58:59]
	s_cbranch_execz .LBB10_290
.LBB10_285:                             ;   Parent Loop BB10_58 Depth=1
                                        ; =>  This Inner Loop Header: Depth=2
	s_sleep 1
	s_waitcnt vmcnt(0) lgkmcnt(0)
	flat_load_dwordx2 v[52:53], v[36:37] sc1
	v_mov_b32_e32 v118, 1
	s_or_b64 s[72:73], s[72:73], exec
	s_or_b64 s[62:63], s[62:63], exec
                                        ; implicit-def: $vgpr9
	s_and_saveexec_b64 s[74:75], vcc
	s_cbranch_execz .LBB10_284
; %bb.286:                              ;   in Loop: Header=BB10_285 Depth=2
	s_add_i32 s92, s92, 1
	s_cmpk_lg_i32 s92, 0x2710
	s_cselect_b64 s[88:89], -1, 0
	s_cmpk_eq_i32 s92, 0x2710
	s_mov_b64 s[76:77], -1
	s_mov_b64 s[78:79], -1
                                        ; implicit-def: $vgpr9
	s_cbranch_scc1 .LBB10_288
; %bb.287:                              ;   in Loop: Header=BB10_285 Depth=2
	v_mov_b32_e32 v118, 1
	s_and_saveexec_b64 s[90:91], s[88:89]
	s_cbranch_execz .LBB10_283
	s_branch .LBB10_289
.LBB10_288:                             ;   in Loop: Header=BB10_285 Depth=2
	s_trap 2
	ds_read_b64 v[96:97], v0
	s_andn2_b64 s[88:89], s[88:89], exec
	s_mov_b32 s92, 0
	s_mov_b64 s[78:79], 0
	s_waitcnt vmcnt(0) lgkmcnt(0)
	flat_load_dword v9, v[96:97] sc0 sc1
	s_waitcnt vmcnt(0) lgkmcnt(0)
	buffer_inv sc0 sc1
	v_cmp_eq_u32_e64 s[16:17], 0, v9
	s_and_b64 s[16:17], s[16:17], exec
	s_or_b64 s[88:89], s[88:89], s[16:17]
	v_mov_b32_e32 v118, 1
	s_and_saveexec_b64 s[90:91], s[88:89]
	s_cbranch_execz .LBB10_283
.LBB10_289:                             ;   in Loop: Header=BB10_285 Depth=2
	s_waitcnt vmcnt(0) lgkmcnt(0)
	v_lshl_add_u64 v[96:97], v[52:53], 0, 8
	v_cmp_ge_u64_e64 s[16:17], v[96:97], v[10:11]
	v_mov_b32_e32 v118, 0
	s_or_b64 s[78:79], s[78:79], exec
	s_orn2_b64 s[76:77], s[16:17], exec
	s_branch .LBB10_283
.LBB10_290:                             ;   in Loop: Header=BB10_58 Depth=1
	s_or_b64 exec, exec, s[58:59]
	s_xor_b64 s[16:17], s[60:61], -1
	s_and_saveexec_b64 s[58:59], s[16:17]
	s_xor_b64 s[16:17], exec, s[58:59]
	s_cbranch_execz .LBB10_292
; %bb.291:                              ;   in Loop: Header=BB10_58 Depth=1
	v_mov_b32_e32 v118, 1
	s_waitcnt lgkmcnt(0)
	ds_write_b32 v0, v9
	s_trap 2
.LBB10_292:                             ;   in Loop: Header=BB10_58 Depth=1
	s_or_b64 exec, exec, s[16:17]
.LBB10_293:                             ;   in Loop: Header=BB10_58 Depth=1
	s_or_b64 exec, exec, s[56:57]
	s_and_saveexec_b64 s[16:17], s[8:9]
	s_cbranch_execz .LBB10_295
; %bb.294:                              ;   in Loop: Header=BB10_58 Depth=1
	v_and_b32_e32 v48, 0x7ffffff8, v8
	v_cmp_eq_u64_e32 vcc, s[40:41], v[48:49]
	v_and_b32_e32 v8, 7, v8
	s_nop 0
	v_cndmask_b32_e32 v9, v12, v114, vcc
	v_lshlrev_b32_e32 v12, 4, v9
	v_ashrrev_i32_e32 v13, 31, v12
	v_mad_u64_u32 v[8:9], s[56:57], v8, 24, v[6:7]
	flat_store_dwordx2 v[8:9], v[12:13] offset:8 sc0 sc1
	s_waitcnt vmcnt(0)
.LBB10_295:                             ;   in Loop: Header=BB10_58 Depth=1
	s_or_b64 exec, exec, s[16:17]
	v_mov_b64_e32 v[8:9], v[10:11]
.LBB10_296:                             ;   in Loop: Header=BB10_58 Depth=1
	s_or_b64 exec, exec, s[46:47]
	s_and_saveexec_b64 s[16:17], s[10:11]
	s_cbranch_execz .LBB10_315
; %bb.297:                              ;   in Loop: Header=BB10_58 Depth=1
	s_and_saveexec_b64 s[46:47], s[26:27]
	s_xor_b64 s[46:47], exec, s[46:47]
	s_cbranch_execz .LBB10_312
; %bb.298:                              ;   in Loop: Header=BB10_58 Depth=1
	s_and_saveexec_b64 s[56:57], s[12:13]
	s_cbranch_execz .LBB10_311
; %bb.299:                              ;   in Loop: Header=BB10_58 Depth=1
	s_mov_b64 s[60:61], exec
	v_mbcnt_lo_u32_b32 v10, s60, 0
	v_mbcnt_hi_u32_b32 v10, s61, v10
	v_cmp_eq_u32_e32 vcc, 0, v10
	buffer_wbl2 sc1
	s_waitcnt vmcnt(0) lgkmcnt(0)
	buffer_inv sc1
	s_and_saveexec_b64 s[58:59], vcc
	s_cbranch_execz .LBB10_301
; %bb.300:                              ;   in Loop: Header=BB10_58 Depth=1
	s_bcnt1_i32_b64 s60, s[60:61]
	v_mov_b32_e32 v48, s60
	ds_add_u64 v0, v[48:49]
	s_trap 2
.LBB10_301:                             ;   in Loop: Header=BB10_58 Depth=1
	s_or_b64 exec, exec, s[58:59]
	s_trap 2
	ds_read_b64 v[10:11], v0
	s_waitcnt lgkmcnt(0)
	v_lshl_add_u64 v[34:35], v[34:35], 0, v[54:55]
	v_cmp_lt_u64_e32 vcc, v[10:11], v[34:35]
	s_and_saveexec_b64 s[58:59], vcc
	s_cbranch_execz .LBB10_310
; %bb.302:                              ;   in Loop: Header=BB10_58 Depth=1
	s_mov_b32 s88, 0
	s_mov_b64 s[60:61], 0
                                        ; implicit-def: $sgpr62_sgpr63
                                        ; implicit-def: $sgpr72_sgpr73
	s_branch .LBB10_304
.LBB10_303:                             ;   in Loop: Header=BB10_304 Depth=2
	s_or_b64 exec, exec, s[76:77]
	s_and_b64 s[74:75], exec, s[78:79]
	s_or_b64 s[60:61], s[74:75], s[60:61]
	s_andn2_b64 s[62:63], s[62:63], exec
	s_and_b64 s[74:75], s[72:73], exec
	s_or_b64 s[62:63], s[62:63], s[74:75]
	s_andn2_b64 exec, exec, s[60:61]
	s_cbranch_execz .LBB10_308
.LBB10_304:                             ;   Parent Loop BB10_58 Depth=1
                                        ; =>  This Inner Loop Header: Depth=2
	s_add_i32 s88, s88, 1
	s_cmpk_lg_i32 s88, 0x2710
	s_cselect_b64 s[74:75], -1, 0
	s_and_b64 vcc, exec, s[74:75]
	s_cbranch_vccz .LBB10_306
; %bb.305:                              ;   in Loop: Header=BB10_304 Depth=2
	s_mov_b64 s[78:79], -1
	s_or_b64 s[72:73], s[72:73], exec
	s_and_saveexec_b64 s[76:77], s[74:75]
	s_cbranch_execz .LBB10_303
	s_branch .LBB10_307
.LBB10_306:                             ;   in Loop: Header=BB10_304 Depth=2
	s_trap 2
	ds_read_b64 v[10:11], v0
	s_andn2_b64 s[74:75], s[74:75], exec
	s_mov_b32 s88, 0
	s_waitcnt lgkmcnt(0)
	flat_load_dword v10, v[10:11] sc0 sc1
	s_waitcnt vmcnt(0) lgkmcnt(0)
	buffer_inv sc0 sc1
	v_cmp_eq_u32_e32 vcc, 0, v10
	s_and_b64 s[76:77], vcc, exec
	s_or_b64 s[74:75], s[74:75], s[76:77]
	s_mov_b64 s[78:79], -1
	s_or_b64 s[72:73], s[72:73], exec
	s_and_saveexec_b64 s[76:77], s[74:75]
	s_cbranch_execz .LBB10_303
.LBB10_307:                             ;   in Loop: Header=BB10_304 Depth=2
	s_sleep 1
	s_trap 2
	ds_read_b64 v[10:11], v0
	s_waitcnt lgkmcnt(0)
	s_andn2_b64 s[72:73], s[72:73], exec
	v_cmp_ge_u64_e32 vcc, v[10:11], v[34:35]
	s_orn2_b64 s[78:79], vcc, exec
	s_branch .LBB10_303
.LBB10_308:                             ;   in Loop: Header=BB10_58 Depth=1
	s_or_b64 exec, exec, s[60:61]
	s_and_saveexec_b64 s[60:61], s[62:63]
	s_xor_b64 s[60:61], exec, s[60:61]
	s_cbranch_execz .LBB10_310
; %bb.309:                              ;   in Loop: Header=BB10_58 Depth=1
	ds_write_b32 v0, v117
	s_trap 2
.LBB10_310:                             ;   in Loop: Header=BB10_58 Depth=1
	s_or_b64 exec, exec, s[58:59]
	;;#ASMSTART
	s_wakeup
	;;#ASMEND
.LBB10_311:                             ;   in Loop: Header=BB10_58 Depth=1
	s_or_b64 exec, exec, s[56:57]
.LBB10_312:                             ;   in Loop: Header=BB10_58 Depth=1
	s_andn2_saveexec_b64 s[46:47], s[46:47]
	s_cbranch_execz .LBB10_314
; %bb.313:                              ;   in Loop: Header=BB10_58 Depth=1
	buffer_wbl2 sc1
	s_waitcnt vmcnt(0) lgkmcnt(0)
	buffer_inv sc1
	s_barrier
.LBB10_314:                             ;   in Loop: Header=BB10_58 Depth=1
	s_or_b64 exec, exec, s[46:47]
.LBB10_315:                             ;   in Loop: Header=BB10_58 Depth=1
	s_or_b64 exec, exec, s[16:17]
	v_sub_u32_e32 v97, v1, v64
	v_cmp_lt_i32_e32 vcc, 0, v97
	v_and_b32_e32 v1, 7, v26
	v_add_u32_e32 v11, 1, v26
	v_mov_b32_e32 v96, v0
	s_and_saveexec_b64 s[16:17], vcc
	s_cbranch_execz .LBB10_323
; %bb.316:                              ;   in Loop: Header=BB10_58 Depth=1
	v_mul_lo_u32 v12, v1, v114
	v_ashrrev_i32_e32 v13, 31, v12
	v_lshl_add_u64 v[98:99], v[12:13], 4, v[84:85]
	s_mov_b64 s[46:47], 0
	v_mov_b32_e32 v102, v65
	v_mov_b64_e32 v[100:101], v[80:81]
	v_mov_b32_e32 v96, v0
	s_branch .LBB10_318
.LBB10_317:                             ;   in Loop: Header=BB10_318 Depth=2
	s_or_b64 exec, exec, s[56:57]
	v_sub_u32_e32 v97, v97, v66
	s_waitcnt vmcnt(0)
	v_alignbit_b32 v10, v112, v10, v102
	v_alignbit_b32 v12, v103, v112, v102
	v_mov_b32_e32 v13, v11
	v_cmp_gt_i32_e32 vcc, 1, v97
	global_store_dwordx4 v[98:99], v[10:13], off
	v_add_u32_e32 v96, v96, v2
	v_lshl_add_u64 v[100:101], v[100:101], 0, v[66:67]
	v_add_u32_e32 v102, v102, v116
	s_or_b64 s[46:47], vcc, s[46:47]
	v_lshl_add_u64 v[98:99], v[98:99], 0, v[70:71]
	buffer_wbl2 sc0 sc1
	s_waitcnt vmcnt(0) lgkmcnt(0)
	s_andn2_b64 exec, exec, s[46:47]
	s_cbranch_execz .LBB10_322
.LBB10_318:                             ;   Parent Loop BB10_58 Depth=1
                                        ; =>  This Inner Loop Header: Depth=2
	v_and_b32_e32 v12, -4, v100
	v_mov_b32_e32 v13, v101
	global_load_dword v10, v[12:13], off nt
	v_min_u32_e32 v48, 8, v97
	v_and_b32_e32 v103, 3, v100
	v_add_u32_e32 v48, v103, v48
	v_cmp_lt_u32_e32 vcc, 4, v48
	v_mov_b32_e32 v103, 0
	v_mov_b32_e32 v112, 0
	s_and_saveexec_b64 s[56:57], vcc
	s_cbranch_execz .LBB10_320
; %bb.319:                              ;   in Loop: Header=BB10_318 Depth=2
	global_load_dword v112, v[12:13], off offset:4 nt
.LBB10_320:                             ;   in Loop: Header=BB10_318 Depth=2
	s_or_b64 exec, exec, s[56:57]
	v_cmp_lt_u64_e32 vcc, 8, v[48:49]
	s_and_saveexec_b64 s[56:57], vcc
	s_cbranch_execz .LBB10_317
; %bb.321:                              ;   in Loop: Header=BB10_318 Depth=2
	global_load_dword v103, v[12:13], off offset:8 nt
	s_branch .LBB10_317
.LBB10_322:                             ;   in Loop: Header=BB10_58 Depth=1
	s_or_b64 exec, exec, s[46:47]
.LBB10_323:                             ;   in Loop: Header=BB10_58 Depth=1
	s_or_b64 exec, exec, s[16:17]
	v_and_b32_e32 v48, 0x7ffffff8, v26
	v_cmp_eq_u64_e32 vcc, s[40:41], v[48:49]
	v_cmp_lt_i32_e64 s[16:17], v96, v114
	s_and_b64 s[46:47], vcc, s[16:17]
	s_and_saveexec_b64 s[16:17], s[46:47]
	s_cbranch_execz .LBB10_55
; %bb.324:                              ;   in Loop: Header=BB10_58 Depth=1
	v_mul_lo_u32 v12, v1, v114
	v_ashrrev_i32_e32 v13, 31, v12
	v_ashrrev_i32_e32 v97, 31, v96
	v_lshlrev_b64 v[12:13], 4, v[12:13]
	v_lshl_add_u64 v[12:13], v[96:97], 4, v[12:13]
	v_mov_b32_e32 v10, v49
	v_lshl_add_u64 v[98:99], v[24:25], 0, v[12:13]
	s_mov_b64 s[46:47], 0
.LBB10_325:                             ;   Parent Loop BB10_58 Depth=1
                                        ; =>  This Inner Loop Header: Depth=2
	v_add_u32_e32 v96, v96, v2
	v_mov_b32_e32 v12, v10
	v_mov_b32_e32 v13, v11
	v_cmp_ge_i32_e32 vcc, v96, v114
	global_store_dwordx4 v[98:99], v[10:13], off
	s_or_b64 s[46:47], vcc, s[46:47]
	v_lshl_add_u64 v[98:99], v[98:99], 0, v[70:71]
	buffer_wbl2 sc0 sc1
	s_waitcnt vmcnt(0) lgkmcnt(0)
	s_andn2_b64 exec, exec, s[46:47]
	s_cbranch_execnz .LBB10_325
	s_branch .LBB10_55
.LBB10_326:
	s_or_b64 exec, exec, s[24:25]
	s_or_b64 exec, exec, s[22:23]
	s_and_saveexec_b64 s[2:3], s[20:21]
	s_cbranch_execz .LBB10_52
.LBB10_327:
	s_waitcnt lgkmcnt(0)
	flat_store_dwordx2 v[18:19], v[28:29] offset:104
	s_or_b64 exec, exec, s[2:3]
	s_and_saveexec_b64 s[2:3], s[0:1]
	s_cbranch_execz .LBB10_53
.LBB10_328:
	s_waitcnt lgkmcnt(0)
	flat_store_dwordx2 v[16:17], v[8:9] offset:104
	s_or_b64 exec, exec, s[2:3]
	v_cmp_ne_u32_e32 vcc, 64, v2
	s_and_saveexec_b64 s[0:1], vcc
	s_cbranch_execz .LBB10_346
.LBB10_329:
	v_cmp_ne_u32_sdwa s[2:3], v2, v30 src0_sel:DWORD src1_sel:WORD_0
	s_and_saveexec_b64 s[4:5], s[2:3]
	s_xor_b64 s[2:3], exec, s[4:5]
	s_cbranch_execz .LBB10_344
; %bb.330:
	v_and_b32_e32 v0, 63, v31
	v_cmp_eq_u32_e32 vcc, 0, v0
	s_and_saveexec_b64 s[4:5], vcc
	s_cbranch_execz .LBB10_343
; %bb.331:
	s_mov_b64 s[8:9], exec
	v_mbcnt_lo_u32_b32 v0, s8, 0
	v_mbcnt_hi_u32_b32 v0, s9, v0
	v_cmp_eq_u32_e32 vcc, 0, v0
	buffer_wbl2 sc1
	s_waitcnt vmcnt(0) lgkmcnt(0)
	buffer_inv sc1
	s_and_saveexec_b64 s[6:7], vcc
	s_cbranch_execz .LBB10_333
; %bb.332:
	s_bcnt1_i32_b64 s8, s[8:9]
	v_mov_b32_e32 v0, s8
	v_mov_b32_e32 v1, 0
	ds_add_u64 v0, v[0:1]
	s_trap 2
.LBB10_333:
	s_or_b64 exec, exec, s[6:7]
	s_trap 2
	ds_read_b64 v[4:5], v0
	s_waitcnt lgkmcnt(0)
	v_lshrrev_b32_e32 v0, 6, v2
	v_mov_b32_e32 v1, 0
	v_lshl_add_u64 v[0:1], v[34:35], 0, v[0:1]
	v_cmp_lt_u64_e32 vcc, v[4:5], v[0:1]
	s_and_saveexec_b64 s[6:7], vcc
	s_cbranch_execz .LBB10_342
; %bb.334:
	s_mov_b32 s22, 0
	s_mov_b64 s[8:9], 0
                                        ; implicit-def: $sgpr10_sgpr11
                                        ; implicit-def: $sgpr12_sgpr13
	s_branch .LBB10_336
.LBB10_335:                             ;   in Loop: Header=BB10_336 Depth=1
	s_or_b64 exec, exec, s[16:17]
	s_and_b64 s[14:15], exec, s[20:21]
	s_or_b64 s[8:9], s[14:15], s[8:9]
	s_andn2_b64 s[10:11], s[10:11], exec
	s_and_b64 s[14:15], s[12:13], exec
	s_or_b64 s[10:11], s[10:11], s[14:15]
	s_andn2_b64 exec, exec, s[8:9]
	s_cbranch_execz .LBB10_340
.LBB10_336:                             ; =>This Inner Loop Header: Depth=1
	s_add_i32 s22, s22, 1
	s_cmpk_lg_i32 s22, 0x2710
	s_cselect_b64 s[14:15], -1, 0
	s_and_b64 vcc, exec, s[14:15]
	s_cbranch_vccz .LBB10_338
; %bb.337:                              ;   in Loop: Header=BB10_336 Depth=1
	s_mov_b64 s[20:21], -1
	s_or_b64 s[12:13], s[12:13], exec
	s_and_saveexec_b64 s[16:17], s[14:15]
	s_cbranch_execz .LBB10_335
	s_branch .LBB10_339
.LBB10_338:                             ;   in Loop: Header=BB10_336 Depth=1
	s_trap 2
	ds_read_b64 v[2:3], v0
	s_andn2_b64 s[14:15], s[14:15], exec
	s_mov_b32 s22, 0
	s_waitcnt lgkmcnt(0)
	flat_load_dword v2, v[2:3] sc0 sc1
	s_waitcnt vmcnt(0) lgkmcnt(0)
	buffer_inv sc0 sc1
	v_cmp_eq_u32_e32 vcc, 0, v2
	s_and_b64 s[16:17], vcc, exec
	s_or_b64 s[14:15], s[14:15], s[16:17]
	s_mov_b64 s[20:21], -1
	s_or_b64 s[12:13], s[12:13], exec
	s_and_saveexec_b64 s[16:17], s[14:15]
	s_cbranch_execz .LBB10_335
.LBB10_339:                             ;   in Loop: Header=BB10_336 Depth=1
	s_sleep 1
	s_trap 2
	ds_read_b64 v[2:3], v0
	s_waitcnt lgkmcnt(0)
	s_andn2_b64 s[12:13], s[12:13], exec
	v_cmp_ge_u64_e32 vcc, v[2:3], v[0:1]
	s_orn2_b64 s[20:21], vcc, exec
	s_branch .LBB10_335
.LBB10_340:
	s_or_b64 exec, exec, s[8:9]
	s_and_saveexec_b64 s[8:9], s[10:11]
	s_xor_b64 s[8:9], exec, s[8:9]
	s_cbranch_execz .LBB10_342
; %bb.341:
	v_mov_b32_e32 v0, 1
	ds_write_b32 v0, v0
	s_trap 2
.LBB10_342:
	s_or_b64 exec, exec, s[6:7]
	;;#ASMSTART
	s_wakeup
	;;#ASMEND
.LBB10_343:
	s_or_b64 exec, exec, s[4:5]
.LBB10_344:
	s_andn2_saveexec_b64 s[2:3], s[2:3]
	s_cbranch_execz .LBB10_346
; %bb.345:
	buffer_wbl2 sc1
	s_waitcnt vmcnt(0) lgkmcnt(0)
	buffer_inv sc1
	s_barrier
.LBB10_346:
	s_or_b64 exec, exec, s[0:1]
	s_or_b64 exec, exec, s[18:19]
	scratch_load_dword v41, off, s32        ; 4-byte Folded Reload
	scratch_load_dword v40, off, s32 offset:4 ; 4-byte Folded Reload
	s_waitcnt vmcnt(0) lgkmcnt(0)
	s_setpc_b64 s[30:31]
.Lfunc_end10:
	.size	_ZN12_GLOBAL__N_17runRingIa7FuncSumIaE7ProtoLLLi0ELi4ELi0EEEviiP15ncclDevWorkColl, .Lfunc_end10-_ZN12_GLOBAL__N_17runRingIa7FuncSumIaE7ProtoLLLi0ELi4ELi0EEEviiP15ncclDevWorkColl
                                        ; -- End function
	.set .L_ZN12_GLOBAL__N_17runRingIa7FuncSumIaE7ProtoLLLi0ELi4ELi0EEEviiP15ncclDevWorkColl.num_vgpr, 120
	.set .L_ZN12_GLOBAL__N_17runRingIa7FuncSumIaE7ProtoLLLi0ELi4ELi0EEEviiP15ncclDevWorkColl.num_agpr, 0
	.set .L_ZN12_GLOBAL__N_17runRingIa7FuncSumIaE7ProtoLLLi0ELi4ELi0EEEviiP15ncclDevWorkColl.numbered_sgpr, 93
	.set .L_ZN12_GLOBAL__N_17runRingIa7FuncSumIaE7ProtoLLLi0ELi4ELi0EEEviiP15ncclDevWorkColl.num_named_barrier, 0
	.set .L_ZN12_GLOBAL__N_17runRingIa7FuncSumIaE7ProtoLLLi0ELi4ELi0EEEviiP15ncclDevWorkColl.private_seg_size, 12
	.set .L_ZN12_GLOBAL__N_17runRingIa7FuncSumIaE7ProtoLLLi0ELi4ELi0EEEviiP15ncclDevWorkColl.uses_vcc, 1
	.set .L_ZN12_GLOBAL__N_17runRingIa7FuncSumIaE7ProtoLLLi0ELi4ELi0EEEviiP15ncclDevWorkColl.uses_flat_scratch, 0
	.set .L_ZN12_GLOBAL__N_17runRingIa7FuncSumIaE7ProtoLLLi0ELi4ELi0EEEviiP15ncclDevWorkColl.has_dyn_sized_stack, 0
	.set .L_ZN12_GLOBAL__N_17runRingIa7FuncSumIaE7ProtoLLLi0ELi4ELi0EEEviiP15ncclDevWorkColl.has_recursion, 0
	.set .L_ZN12_GLOBAL__N_17runRingIa7FuncSumIaE7ProtoLLLi0ELi4ELi0EEEviiP15ncclDevWorkColl.has_indirect_call, 0
	.section	.AMDGPU.csdata,"",@progbits
; Function info:
; codeLenInByte = 10524
; TotalNumSgprs: 99
; NumVgprs: 120
; NumAgprs: 0
; TotalNumVgprs: 120
; ScratchSize: 12
; MemoryBound: 1
	.text
	.p2align	2                               ; -- Begin function _Z42ncclDevFunc_Broadcast_RING_LL_Sum_i8_0_0_4v
	.type	_Z42ncclDevFunc_Broadcast_RING_LL_Sum_i8_0_0_4v,@function
_Z42ncclDevFunc_Broadcast_RING_LL_Sum_i8_0_0_4v: ; @_Z42ncclDevFunc_Broadcast_RING_LL_Sum_i8_0_0_4v
; %bb.0:
	s_waitcnt vmcnt(0) expcnt(0) lgkmcnt(0)
	s_mov_b32 s0, s33
	s_mov_b32 s33, s32
	s_or_saveexec_b64 s[2:3], -1
	scratch_store_dword off, v43, s33 offset:12 ; 4-byte Folded Spill
	s_mov_b64 exec, s[2:3]
	v_writelane_b32 v43, s0, 5
	s_add_i32 s32, s32, 32
	scratch_store_dword off, v40, s33 offset:8 ; 4-byte Folded Spill
	scratch_store_dword off, v41, s33 offset:4 ; 4-byte Folded Spill
	scratch_store_dword off, v42, s33       ; 4-byte Folded Spill
	v_writelane_b32 v43, s34, 0
	v_writelane_b32 v43, s35, 1
	;; [unrolled: 1-line block ×4, first 2 shown]
	s_nop 1
	v_writelane_b32 v43, s31, 4
	s_trap 2
	ds_read_b32 v0, v0
	v_mov_b32_e32 v40, v31
	s_waitcnt lgkmcnt(0)
	v_cmp_gt_i32_e32 vcc, 1, v0
	s_cbranch_vccnz .LBB11_8
; %bb.1:
	s_mov_b32 s93, s12
	s_mov_b64 s[94:95], s[8:9]
	s_mov_b32 s36, 0
	v_and_b32_e32 v41, 0x3ff, v40
	v_mov_b32_e32 v42, 6
	s_branch .LBB11_3
.LBB11_2:                               ;   in Loop: Header=BB11_3 Depth=1
	s_or_b64 exec, exec, s[34:35]
	s_trap 2
	ds_read_b32 v0, v0
	s_add_i32 s36, s36, 1
	s_waitcnt lgkmcnt(0)
	v_cmp_lt_i32_e32 vcc, s36, v0
	s_cbranch_vccz .LBB11_8
.LBB11_3:                               ; =>This Inner Loop Header: Depth=1
	s_trap 2
	ds_read_b32 v0, v0
	s_cmp_eq_u32 s36, 0
	s_cbranch_scc1 .LBB11_6
; %bb.4:                                ;   in Loop: Header=BB11_3 Depth=1
	s_trap 2
	s_waitcnt lgkmcnt(0)
	ds_read_b32 v1, v0
	s_waitcnt lgkmcnt(0)
	v_xor_b32_e32 v1, v1, v0
	v_and_b32_e32 v1, 0xff0000, v1
	v_cmp_eq_u32_e32 vcc, 0, v1
	s_cbranch_vccnz .LBB11_6
; %bb.5:                                ;   in Loop: Header=BB11_3 Depth=1
	s_barrier
	ds_read_b32 v0, v0
.LBB11_6:                               ;   in Loop: Header=BB11_3 Depth=1
	s_waitcnt lgkmcnt(0)
	v_lshlrev_b32_sdwa v1, v42, v0 dst_sel:DWORD dst_unused:UNUSED_PAD src0_sel:DWORD src1_sel:BYTE_2
	v_cmp_lt_u32_e32 vcc, v41, v1
	s_and_saveexec_b64 s[34:35], vcc
	s_cbranch_execz .LBB11_2
; %bb.7:                                ;   in Loop: Header=BB11_3 Depth=1
	s_mov_b64 s[0:1], src_shared_base
	s_getpc_b64 s[2:3]
	s_add_u32 s2, s2, _ZN12_GLOBAL__N_17runRingIa7FuncSumIaE7ProtoLLLi0ELi4ELi0EEEviiP15ncclDevWorkColl@rel32@lo+4
	s_addc_u32 s3, s3, _ZN12_GLOBAL__N_17runRingIa7FuncSumIaE7ProtoLLLi0ELi4ELi0EEEviiP15ncclDevWorkColl@rel32@hi+12
	s_mov_b64 s[8:9], s[94:95]
	s_mov_b32 s12, s93
	v_mov_b32_e32 v31, v40
	v_mov_b32_e32 v0, v41
	;; [unrolled: 1-line block ×3, first 2 shown]
	s_swappc_b64 s[30:31], s[2:3]
	s_branch .LBB11_2
.LBB11_8:
	scratch_load_dword v42, off, s33        ; 4-byte Folded Reload
	scratch_load_dword v41, off, s33 offset:4 ; 4-byte Folded Reload
	scratch_load_dword v40, off, s33 offset:8 ; 4-byte Folded Reload
	v_readlane_b32 s30, v43, 3
	v_readlane_b32 s31, v43, 4
	;; [unrolled: 1-line block ×5, first 2 shown]
	s_mov_b32 s32, s33
	v_readlane_b32 s0, v43, 5
	s_or_saveexec_b64 s[2:3], -1
	scratch_load_dword v43, off, s33 offset:12 ; 4-byte Folded Reload
	s_mov_b64 exec, s[2:3]
	s_mov_b32 s33, s0
	s_waitcnt vmcnt(0)
	s_setpc_b64 s[30:31]
.Lfunc_end11:
	.size	_Z42ncclDevFunc_Broadcast_RING_LL_Sum_i8_0_0_4v, .Lfunc_end11-_Z42ncclDevFunc_Broadcast_RING_LL_Sum_i8_0_0_4v
                                        ; -- End function
	.set .L_Z42ncclDevFunc_Broadcast_RING_LL_Sum_i8_0_0_4v.num_vgpr, max(44, .L_ZN12_GLOBAL__N_17runRingIa7FuncSumIaE7ProtoLLLi0ELi4ELi0EEEviiP15ncclDevWorkColl.num_vgpr)
	.set .L_Z42ncclDevFunc_Broadcast_RING_LL_Sum_i8_0_0_4v.num_agpr, max(0, .L_ZN12_GLOBAL__N_17runRingIa7FuncSumIaE7ProtoLLLi0ELi4ELi0EEEviiP15ncclDevWorkColl.num_agpr)
	.set .L_Z42ncclDevFunc_Broadcast_RING_LL_Sum_i8_0_0_4v.numbered_sgpr, max(96, .L_ZN12_GLOBAL__N_17runRingIa7FuncSumIaE7ProtoLLLi0ELi4ELi0EEEviiP15ncclDevWorkColl.numbered_sgpr)
	.set .L_Z42ncclDevFunc_Broadcast_RING_LL_Sum_i8_0_0_4v.num_named_barrier, max(0, .L_ZN12_GLOBAL__N_17runRingIa7FuncSumIaE7ProtoLLLi0ELi4ELi0EEEviiP15ncclDevWorkColl.num_named_barrier)
	.set .L_Z42ncclDevFunc_Broadcast_RING_LL_Sum_i8_0_0_4v.private_seg_size, 32+max(.L_ZN12_GLOBAL__N_17runRingIa7FuncSumIaE7ProtoLLLi0ELi4ELi0EEEviiP15ncclDevWorkColl.private_seg_size)
	.set .L_Z42ncclDevFunc_Broadcast_RING_LL_Sum_i8_0_0_4v.uses_vcc, or(1, .L_ZN12_GLOBAL__N_17runRingIa7FuncSumIaE7ProtoLLLi0ELi4ELi0EEEviiP15ncclDevWorkColl.uses_vcc)
	.set .L_Z42ncclDevFunc_Broadcast_RING_LL_Sum_i8_0_0_4v.uses_flat_scratch, or(0, .L_ZN12_GLOBAL__N_17runRingIa7FuncSumIaE7ProtoLLLi0ELi4ELi0EEEviiP15ncclDevWorkColl.uses_flat_scratch)
	.set .L_Z42ncclDevFunc_Broadcast_RING_LL_Sum_i8_0_0_4v.has_dyn_sized_stack, or(0, .L_ZN12_GLOBAL__N_17runRingIa7FuncSumIaE7ProtoLLLi0ELi4ELi0EEEviiP15ncclDevWorkColl.has_dyn_sized_stack)
	.set .L_Z42ncclDevFunc_Broadcast_RING_LL_Sum_i8_0_0_4v.has_recursion, or(1, .L_ZN12_GLOBAL__N_17runRingIa7FuncSumIaE7ProtoLLLi0ELi4ELi0EEEviiP15ncclDevWorkColl.has_recursion)
	.set .L_Z42ncclDevFunc_Broadcast_RING_LL_Sum_i8_0_0_4v.has_indirect_call, or(0, .L_ZN12_GLOBAL__N_17runRingIa7FuncSumIaE7ProtoLLLi0ELi4ELi0EEEviiP15ncclDevWorkColl.has_indirect_call)
	.section	.AMDGPU.csdata,"",@progbits
; Function info:
; codeLenInByte = 448
; TotalNumSgprs: 102
; NumVgprs: 120
; NumAgprs: 0
; TotalNumVgprs: 120
; ScratchSize: 44
; MemoryBound: 0
	.text
	.p2align	2                               ; -- Begin function _ZN12_GLOBAL__N_17runRingIa7FuncSumIaE11ProtoSimpleILi1ELi1ELi0ELi4ELi0ELi0EELi0ELi4ELi0EEEviiP15ncclDevWorkColl
	.type	_ZN12_GLOBAL__N_17runRingIa7FuncSumIaE11ProtoSimpleILi1ELi1ELi0ELi4ELi0ELi0EELi0ELi4ELi0EEEviiP15ncclDevWorkColl,@function
_ZN12_GLOBAL__N_17runRingIa7FuncSumIaE11ProtoSimpleILi1ELi1ELi0ELi4ELi0ELi0EELi0ELi4ELi0EEEviiP15ncclDevWorkColl: ; @_ZN12_GLOBAL__N_17runRingIa7FuncSumIaE11ProtoSimpleILi1ELi1ELi0ELi4ELi0ELi0EELi0ELi4ELi0EEEviiP15ncclDevWorkColl
; %bb.0:
	s_waitcnt vmcnt(0) expcnt(0) lgkmcnt(0)
	s_mov_b32 s0, s33
	s_mov_b32 s33, s32
	s_or_saveexec_b64 s[2:3], -1
	scratch_store_dword off, v110, s33 offset:152 ; 4-byte Folded Spill
	s_mov_b64 exec, s[2:3]
	v_writelane_b32 v110, s0, 25
	s_addk_i32 s32, 0xa0
	scratch_store_dword off, v40, s33 offset:148 ; 4-byte Folded Spill
	scratch_store_dword off, v41, s33 offset:144 ; 4-byte Folded Spill
	;; [unrolled: 1-line block ×37, first 2 shown]
	scratch_store_dword off, v109, s33      ; 4-byte Folded Spill
	v_writelane_b32 v110, s34, 0
	v_writelane_b32 v110, s35, 1
	;; [unrolled: 1-line block ×24, first 2 shown]
	s_nop 1
	v_writelane_b32 v110, s31, 24
	s_trap 2
	ds_read_b64 v[4:5], v0
	flat_load_ushort v9, v[2:3] offset:8
	flat_load_dwordx2 v[16:17], v[2:3]
	ds_read_b32 v6, v0
                                        ; implicit-def: $vgpr36_vgpr37
                                        ; implicit-def: $vgpr14_vgpr15
	s_waitcnt lgkmcnt(0)
	flat_load_dwordx2 v[34:35], v[4:5]
                                        ; implicit-def: $vgpr4_vgpr5
	s_waitcnt vmcnt(0)
	v_mov_b32_e32 v8, v17
	v_cmp_ne_u32_sdwa s[0:1], v6, v16 src0_sel:DWORD src1_sel:BYTE_0
	s_and_saveexec_b64 s[2:3], s[0:1]
	s_xor_b64 s[0:1], exec, s[2:3]
	s_cbranch_execz .LBB12_6
; %bb.1:
	v_not_b32_sdwa v10, v16 dst_sel:DWORD dst_unused:UNUSED_PAD src0_sel:BYTE_0
	v_cmp_ne_u32_sdwa s[2:3], v6, v16 src0_sel:DWORD src1_sel:BYTE_1
                                        ; implicit-def: $vgpr36_vgpr37
                                        ; implicit-def: $vgpr4_vgpr5
                                        ; implicit-def: $vgpr14_vgpr15
	s_and_saveexec_b64 s[4:5], s[2:3]
	s_xor_b64 s[2:3], exec, s[4:5]
	s_cbranch_execz .LBB12_3
; %bb.2:
	flat_load_dwordx4 v[18:21], v[2:3] offset:72
	flat_load_dwordx2 v[4:5], v[2:3] offset:96
	v_add_u32_e32 v6, v6, v10
	v_ashrrev_i32_e32 v7, 31, v6
                                        ; implicit-def: $vgpr10
	s_waitcnt vmcnt(0) lgkmcnt(0)
	v_mul_lo_u32 v7, v20, v7
	v_mad_u64_u32 v[14:15], s[4:5], v20, v6, v[18:19]
	v_mul_lo_u32 v6, v21, v6
	v_lshrrev_b64 v[36:37], 21, v[4:5]
	v_add3_u32 v15, v6, v15, v7
	v_mov_b64_e32 v[4:5], v[20:21]
.LBB12_3:
	s_andn2_saveexec_b64 s[2:3], s[2:3]
	s_cbranch_execz .LBB12_5
; %bb.4:
	flat_load_dwordx4 v[18:21], v[2:3] offset:72
	flat_load_dwordx4 v[4:7], v[2:3] offset:88
	s_waitcnt vmcnt(0) lgkmcnt(0)
	v_add_u32_sdwa v6, v16, v10 dst_sel:DWORD dst_unused:UNUSED_PAD src0_sel:BYTE_1 src1_sel:DWORD
	v_ashrrev_i32_e32 v10, 31, v6
	v_mul_lo_u32 v10, v20, v10
	v_mad_u64_u32 v[14:15], s[4:5], v20, v6, v[18:19]
	v_mul_lo_u32 v6, v21, v6
	v_add3_u32 v15, v6, v15, v10
	v_lshrrev_b32_e32 v36, 10, v7
.LBB12_5:
	s_or_b64 exec, exec, s[2:3]
.LBB12_6:
	s_andn2_saveexec_b64 s[0:1], s[0:1]
	s_cbranch_execz .LBB12_8
; %bb.7:
	flat_load_dwordx2 v[4:5], v[2:3] offset:72
	flat_load_dwordx2 v[36:37], v[2:3] offset:96
	v_mov_b64_e32 v[14:15], 0
.LBB12_8:
	s_or_b64 exec, exec, s[0:1]
	flat_load_dwordx4 v[10:13], v[2:3] offset:16
	s_brev_b32 s0, 34
	v_and_b32_e32 v6, 0x44000000, v16
	v_cmp_eq_u32_e64 s[16:17], s0, v6
	s_waitcnt vmcnt(0) lgkmcnt(0)
	v_bfe_u32 v37, v8, 1, 30
	v_cndmask_b32_e64 v23, v1, 64, s[16:17]
	v_cmp_ge_i32_e32 vcc, v0, v23
	s_and_saveexec_b64 s[0:1], vcc
	s_xor_b64 s[2:3], exec, s[0:1]
	s_cbranch_execz .LBB12_38
; %bb.9:
	v_cmp_ne_u64_e32 vcc, v[12:13], v[10:11]
	v_cmp_eq_u32_e64 s[0:1], v34, v37
	s_and_b64 s[0:1], vcc, s[0:1]
	s_and_saveexec_b64 s[4:5], s[0:1]
	s_cbranch_execz .LBB12_37
; %bb.10:
	v_sub_u32_e32 v25, v0, v23
	v_ashrrev_i16_e32 v0, 15, v25
	v_lshrrev_b16_e32 v0, 10, v0
	v_add_u16_e32 v0, v25, v0
	v_and_b32_e32 v2, 0xffffffc0, v0
	v_sub_u16_e32 v22, v25, v2
	v_lshl_add_u64 v[6:7], v[12:13], 0, v[14:15]
	v_lshl_add_u64 v[8:9], v[10:11], 0, v[14:15]
	v_cmp_gt_i16_e32 vcc, 1, v22
	s_mov_b64 s[0:1], 0
	s_and_saveexec_b64 s[6:7], vcc
; %bb.11:
	v_bitop3_b32 v2, v6, 15, v8 bitop3:0xc8
	v_cmp_ne_u32_e32 vcc, 0, v2
	s_and_b64 s[0:1], vcc, exec
; %bb.12:
	s_or_b64 exec, exec, s[6:7]
	v_sub_u32_e32 v24, v1, v23
	v_cndmask_b32_e64 v1, 0, 1, s[0:1]
	v_cmp_ne_u32_e32 vcc, 0, v1
	s_cbranch_vccz .LBB12_14
; %bb.13:
	s_mov_b64 s[6:7], -1
	v_mov_b64_e32 v[0:1], 0
	s_and_b64 exec, exec, s[6:7]
	s_cbranch_execnz .LBB12_29
	s_branch .LBB12_37
.LBB12_14:
	v_ashrrev_i16_e32 v2, 6, v0
	v_ashrrev_i32_e32 v0, 31, v5
	v_lshrrev_b32_e32 v0, 19, v0
	v_mov_b32_e32 v1, 0
	v_lshl_add_u64 v[0:1], v[4:5], 0, v[0:1]
	v_ashrrev_i64 v[0:1], 13, v[0:1]
	v_bfe_i32 v16, v2, 0, 16
	v_ashrrev_i32_e32 v3, 31, v16
	v_sub_co_u32_e32 v2, vcc, v0, v16
	s_mov_b64 s[10:11], 0
	s_nop 0
	v_subb_co_u32_e32 v3, vcc, v1, v3, vcc
	v_cmp_lt_i64_e32 vcc, 0, v[2:3]
	s_and_saveexec_b64 s[6:7], vcc
	s_cbranch_execz .LBB12_18
; %bb.15:
	v_ashrrev_i16_e32 v18, 15, v24
	v_lshrrev_b16_e32 v18, 10, v18
	v_mov_b32_e32 v17, 4
	v_add_u16_e32 v18, v24, v18
	v_lshlrev_b32_sdwa v17, v17, sext(v22) dst_sel:DWORD dst_unused:UNUSED_PAD src0_sel:DWORD src1_sel:WORD_0
	v_ashrrev_i16_e32 v19, 6, v18
	v_mov_b32_e32 v20, 13
	v_lshl_add_u32 v16, v16, 13, v17
	v_bfe_i32 v18, v19, 0, 16
	v_lshlrev_b32_sdwa v20, v20, sext(v19) dst_sel:DWORD dst_unused:UNUSED_PAD src0_sel:DWORD src1_sel:WORD_0
	v_ashrrev_i32_e32 v17, 31, v16
	v_ashrrev_i32_e32 v19, 31, v18
	;; [unrolled: 1-line block ×3, first 2 shown]
.LBB12_16:                              ; =>This Inner Loop Header: Depth=1
	v_lshl_add_u64 v[38:39], v[16:17], 0, v[6:7]
	global_load_dwordx4 v[26:29], v[38:39], off nt
	global_load_dwordx4 v[30:33], v[38:39], off offset:1024 nt
	global_load_dwordx4 v[34:37], v[38:39], off offset:2048 nt
	global_load_dwordx4 v[48:51], v[38:39], off offset:3072 nt
	v_add_co_u32_e32 v38, vcc, 0x1000, v38
	v_lshl_add_u64 v[6:7], v[6:7], 0, v[20:21]
	s_nop 0
	v_addc_co_u32_e32 v39, vcc, 0, v39, vcc
	global_load_dwordx4 v[52:55], v[38:39], off nt
	global_load_dwordx4 v[64:67], v[38:39], off offset:1024 nt
	global_load_dwordx4 v[68:71], v[38:39], off offset:2048 nt
	;; [unrolled: 1-line block ×3, first 2 shown]
	v_sub_co_u32_e32 v2, vcc, v2, v18
	v_lshl_add_u64 v[38:39], v[16:17], 0, v[8:9]
	s_nop 0
	v_subb_co_u32_e32 v3, vcc, v3, v19, vcc
	v_cmp_gt_i64_e64 s[0:1], 1, v[2:3]
	v_lshl_add_u64 v[8:9], v[8:9], 0, v[20:21]
	v_add_co_u32_e32 v84, vcc, 0x1000, v38
	s_or_b64 s[10:11], s[0:1], s[10:11]
	s_nop 0
	v_addc_co_u32_e32 v85, vcc, 0, v39, vcc
	s_waitcnt vmcnt(7)
	global_store_dwordx4 v[38:39], v[26:29], off
	s_waitcnt vmcnt(7)
	global_store_dwordx4 v[38:39], v[30:33], off offset:1024
	s_waitcnt vmcnt(7)
	global_store_dwordx4 v[38:39], v[34:37], off offset:2048
	;; [unrolled: 2-line block ×3, first 2 shown]
	s_waitcnt vmcnt(7)
	global_store_dwordx4 v[84:85], v[52:55], off
	s_waitcnt vmcnt(7)
	global_store_dwordx4 v[84:85], v[64:67], off offset:1024
	s_waitcnt vmcnt(7)
	global_store_dwordx4 v[84:85], v[68:71], off offset:2048
	;; [unrolled: 2-line block ×3, first 2 shown]
	s_andn2_b64 exec, exec, s[10:11]
	s_cbranch_execnz .LBB12_16
; %bb.17:
	s_or_b64 exec, exec, s[10:11]
.LBB12_18:
	s_or_b64 exec, exec, s[6:7]
	v_lshlrev_b64 v[8:9], 13, v[0:1]
	v_cmp_ne_u64_e32 vcc, v[4:5], v[8:9]
	s_mov_b64 s[6:7], 0
	v_mov_b64_e32 v[0:1], 0
                                        ; implicit-def: $vgpr6_vgpr7
                                        ; implicit-def: $vgpr25
	s_and_saveexec_b64 s[0:1], vcc
	s_cbranch_execz .LBB12_28
; %bb.19:
	v_sub_co_u32_e32 v16, vcc, v4, v8
	v_mov_b32_e32 v21, 0
	s_nop 0
	v_subb_co_u32_e32 v17, vcc, v5, v9, vcc
	v_ashrrev_i32_e32 v0, 31, v17
	v_lshrrev_b32_e32 v20, 22, v0
	v_lshl_add_u64 v[6:7], v[16:17], 0, v[20:21]
	v_ashrrev_i64 v[18:19], 10, v[6:7]
	v_and_b32_e32 v6, 0xfffffc00, v6
	v_lshl_add_u64 v[0:1], v[6:7], 0, v[8:9]
	v_sub_co_u32_e32 v6, vcc, v16, v6
	s_nop 1
	v_subb_co_u32_e32 v7, vcc, v17, v7, vcc
	v_cmp_lt_i64_e32 vcc, 15, v[6:7]
	s_and_saveexec_b64 s[6:7], vcc
; %bb.20:
	v_and_b32_e32 v20, 15, v4
	v_sub_co_u32_e32 v4, vcc, v6, v20
	v_lshl_add_u64 v[18:19], v[18:19], 0, 1
	s_nop 0
	v_subbrev_co_u32_e32 v5, vcc, 0, v7, vcc
	v_lshl_add_u64 v[0:1], v[4:5], 0, v[0:1]
	v_mov_b64_e32 v[6:7], v[20:21]
; %bb.21:
	s_or_b64 exec, exec, s[6:7]
	v_lshlrev_b32_e32 v2, 6, v2
	v_sub_u32_sdwa v2, sext(v22), v2 dst_sel:DWORD dst_unused:UNUSED_PAD src0_sel:WORD_0 src1_sel:DWORD
	v_ashrrev_i32_e32 v3, 31, v2
	v_lshrrev_b32_e32 v3, 26, v3
	v_add_u32_e32 v3, v2, v3
	v_ashrrev_i32_e32 v23, 6, v3
	v_and_b32_e32 v3, 0xffffffc0, v3
	v_sub_u32_e32 v22, v2, v3
	v_lshlrev_b32_e32 v2, 4, v22
	v_lshl_add_u32 v20, v23, 10, v2
	v_ashrrev_i32_e32 v21, 31, v20
	v_sub_co_u32_e32 v4, vcc, v16, v20
	v_ashrrev_i32_e32 v3, 31, v23
	s_nop 0
	v_subb_co_u32_e32 v5, vcc, v17, v21, vcc
	v_sub_co_u32_e32 v2, vcc, v18, v23
	s_nop 1
	v_subb_co_u32_e32 v3, vcc, v19, v3, vcc
	v_cmp_lt_i64_e32 vcc, 15, v[4:5]
	s_and_saveexec_b64 s[6:7], vcc
	s_cbranch_execz .LBB12_25
; %bb.22:
	v_ashrrev_i16_e32 v16, 15, v24
	v_lshrrev_b16_e32 v16, 10, v16
	v_add_u16_e32 v16, v24, v16
	v_ashrrev_i16_e32 v17, 6, v16
	v_mov_b32_e32 v18, 10
	v_bfe_i32 v16, v17, 0, 16
	v_lshlrev_b32_sdwa v18, v18, sext(v17) dst_sel:DWORD dst_unused:UNUSED_PAD src0_sel:DWORD src1_sel:WORD_0
	v_lshl_add_u64 v[8:9], v[14:15], 0, v[8:9]
	v_ashrrev_i32_e32 v19, 31, v18
	v_ashrrev_i32_e32 v17, 31, v16
	v_lshl_add_u64 v[8:9], v[8:9], 0, v[20:21]
	s_mov_b64 s[10:11], 0
.LBB12_23:                              ; =>This Inner Loop Header: Depth=1
	v_lshl_add_u64 v[20:21], v[12:13], 0, v[8:9]
	global_load_dwordx4 v[26:29], v[20:21], off nt
	v_sub_co_u32_e32 v4, vcc, v4, v18
	v_lshl_add_u64 v[20:21], v[10:11], 0, v[8:9]
	s_nop 0
	v_subb_co_u32_e32 v5, vcc, v5, v19, vcc
	v_sub_co_u32_e32 v2, vcc, v2, v16
	v_lshl_add_u64 v[8:9], v[8:9], 0, v[18:19]
	s_nop 0
	v_subb_co_u32_e32 v3, vcc, v3, v17, vcc
	v_cmp_gt_i64_e32 vcc, 16, v[4:5]
	s_or_b64 s[10:11], vcc, s[10:11]
	s_waitcnt vmcnt(0)
	global_store_dwordx4 v[20:21], v[26:29], off
	s_andn2_b64 exec, exec, s[10:11]
	s_cbranch_execnz .LBB12_23
; %bb.24:
	s_or_b64 exec, exec, s[10:11]
.LBB12_25:
	s_or_b64 exec, exec, s[6:7]
	v_cmp_lt_i64_e32 vcc, 0, v[2:3]
	s_and_saveexec_b64 s[6:7], vcc
; %bb.26:
	v_ashrrev_i16_e32 v3, 15, v24
	v_lshrrev_b16_e32 v3, 10, v3
	v_add_u16_e32 v3, v24, v3
	v_ashrrev_i16_e32 v3, 6, v3
	v_bfe_i32 v3, v3, 0, 16
	v_sub_co_u32_e32 v2, vcc, v2, v3
; %bb.27:
	s_or_b64 exec, exec, s[6:7]
	v_lshlrev_b32_e32 v2, 6, v2
	v_cmp_ne_u64_e32 vcc, 0, v[6:7]
	v_sub_u32_e32 v25, v22, v2
	s_and_b64 s[6:7], vcc, exec
.LBB12_28:
	s_or_b64 exec, exec, s[0:1]
	v_mov_b64_e32 v[4:5], v[6:7]
	s_and_b64 exec, exec, s[6:7]
	s_cbranch_execz .LBB12_37
.LBB12_29:
	v_ashrrev_i32_e32 v2, 31, v25
	v_lshrrev_b32_e32 v2, 26, v2
	v_add_u32_e32 v8, v25, v2
	v_ashrrev_i32_e32 v2, 31, v5
	v_lshrrev_b32_e32 v2, 21, v2
	v_mov_b32_e32 v3, 0
	v_lshl_add_u64 v[2:3], v[4:5], 0, v[2:3]
	v_ashrrev_i32_e32 v26, 6, v8
	v_ashrrev_i64 v[6:7], 11, v[2:3]
	v_ashrrev_i32_e32 v3, 31, v26
	v_sub_co_u32_e32 v2, vcc, v6, v26
	s_mov_b64 s[6:7], 0
	s_nop 0
	v_subb_co_u32_e32 v3, vcc, v7, v3, vcc
	v_cmp_lt_i64_e32 vcc, 0, v[2:3]
	s_and_saveexec_b64 s[0:1], vcc
	s_cbranch_execz .LBB12_33
; %bb.30:
	v_ashrrev_i16_e32 v16, 15, v24
	v_lshrrev_b16_e32 v16, 10, v16
	v_and_b32_e32 v8, 0xffffffc0, v8
	v_add_u16_e32 v16, v24, v16
	v_sub_u32_e32 v8, v25, v8
	v_ashrrev_i16_e32 v17, 6, v16
	v_mov_b32_e32 v18, 11
	v_lshl_add_u32 v8, v26, 11, v8
	v_bfe_i32 v16, v17, 0, 16
	v_lshlrev_b32_sdwa v18, v18, sext(v17) dst_sel:DWORD dst_unused:UNUSED_PAD src0_sel:DWORD src1_sel:WORD_0
	v_lshl_add_u64 v[22:23], v[14:15], 0, v[0:1]
	v_ashrrev_i32_e32 v9, 31, v8
	v_ashrrev_i32_e32 v17, 31, v16
	;; [unrolled: 1-line block ×3, first 2 shown]
	v_lshl_add_u64 v[20:21], v[22:23], 0, v[12:13]
	v_lshl_add_u64 v[22:23], v[22:23], 0, v[10:11]
.LBB12_31:                              ; =>This Inner Loop Header: Depth=1
	v_lshl_add_u64 v[28:29], v[8:9], 0, v[20:21]
	flat_load_ubyte v27, v[28:29] nt
	flat_load_ubyte v30, v[28:29] offset:64 nt
	flat_load_ubyte v31, v[28:29] offset:128 nt
	;; [unrolled: 1-line block ×31, first 2 shown]
	v_sub_co_u32_e32 v2, vcc, v2, v16
	v_lshl_add_u64 v[28:29], v[8:9], 0, v[22:23]
	s_nop 0
	v_subb_co_u32_e32 v3, vcc, v3, v17, vcc
	v_cmp_gt_i64_e32 vcc, 1, v[2:3]
	v_lshl_add_u64 v[20:21], v[20:21], 0, v[18:19]
	v_lshl_add_u64 v[22:23], v[22:23], 0, v[18:19]
	s_or_b64 s[6:7], vcc, s[6:7]
	s_waitcnt vmcnt(0) lgkmcnt(0)
	flat_store_byte v[28:29], v27 nt
	flat_store_byte v[28:29], v30 offset:64 nt
	flat_store_byte v[28:29], v31 offset:128 nt
	flat_store_byte v[28:29], v32 offset:192 nt
	flat_store_byte v[28:29], v33 offset:256 nt
	flat_store_byte v[28:29], v34 offset:320 nt
	flat_store_byte v[28:29], v35 offset:384 nt
	flat_store_byte v[28:29], v36 offset:448 nt
	flat_store_byte v[28:29], v37 offset:512 nt
	flat_store_byte v[28:29], v38 offset:576 nt
	flat_store_byte v[28:29], v39 offset:640 nt
	flat_store_byte v[28:29], v48 offset:704 nt
	flat_store_byte v[28:29], v49 offset:768 nt
	flat_store_byte v[28:29], v50 offset:832 nt
	flat_store_byte v[28:29], v51 offset:896 nt
	flat_store_byte v[28:29], v52 offset:960 nt
	flat_store_byte v[28:29], v53 offset:1024 nt
	flat_store_byte v[28:29], v54 offset:1088 nt
	flat_store_byte v[28:29], v55 offset:1152 nt
	flat_store_byte v[28:29], v64 offset:1216 nt
	flat_store_byte v[28:29], v65 offset:1280 nt
	flat_store_byte v[28:29], v66 offset:1344 nt
	flat_store_byte v[28:29], v67 offset:1408 nt
	flat_store_byte v[28:29], v68 offset:1472 nt
	flat_store_byte v[28:29], v69 offset:1536 nt
	flat_store_byte v[28:29], v70 offset:1600 nt
	flat_store_byte v[28:29], v71 offset:1664 nt
	flat_store_byte v[28:29], v80 offset:1728 nt
	flat_store_byte v[28:29], v81 offset:1792 nt
	flat_store_byte v[28:29], v82 offset:1856 nt
	flat_store_byte v[28:29], v83 offset:1920 nt
	flat_store_byte v[28:29], v84 offset:1984 nt
	s_andn2_b64 exec, exec, s[6:7]
	s_cbranch_execnz .LBB12_31
; %bb.32:
	s_or_b64 exec, exec, s[6:7]
.LBB12_33:
	s_or_b64 exec, exec, s[0:1]
	v_lshlrev_b64 v[6:7], 11, v[6:7]
	v_cmp_ne_u64_e32 vcc, v[4:5], v[6:7]
	s_and_b64 exec, exec, vcc
	s_cbranch_execz .LBB12_37
; %bb.34:
	v_lshlrev_b32_e32 v3, 6, v26
	v_sub_u32_e32 v3, v25, v3
	v_lshlrev_b32_e32 v2, 6, v2
	v_sub_u32_e32 v8, v3, v2
	v_ashrrev_i32_e32 v9, 31, v8
	v_lshl_add_u64 v[2:3], v[6:7], 0, v[8:9]
	v_sub_co_u32_e32 v2, vcc, v4, v2
	s_mov_b64 s[0:1], 0
	s_nop 0
	v_subb_co_u32_e32 v3, vcc, v5, v3, vcc
	v_cmp_lt_i64_e32 vcc, 0, v[2:3]
	s_and_b64 exec, exec, vcc
	s_cbranch_execz .LBB12_37
; %bb.35:
	v_ashrrev_i16_e32 v4, 15, v24
	v_lshrrev_b16_e32 v4, 10, v4
	v_add_u16_e32 v4, v24, v4
	v_ashrrev_i16_e32 v4, 6, v4
	v_mov_b32_e32 v5, 6
	v_lshl_add_u64 v[0:1], v[14:15], 0, v[0:1]
	v_lshlrev_b32_sdwa v4, v5, sext(v4) dst_sel:DWORD dst_unused:UNUSED_PAD src0_sel:DWORD src1_sel:WORD_0
	v_lshl_add_u64 v[0:1], v[0:1], 0, v[6:7]
	v_ashrrev_i32_e32 v5, 31, v4
	v_lshl_add_u64 v[0:1], v[0:1], 0, v[8:9]
.LBB12_36:                              ; =>This Inner Loop Header: Depth=1
	v_lshl_add_u64 v[6:7], v[12:13], 0, v[0:1]
	flat_load_ubyte v8, v[6:7] nt
	v_sub_co_u32_e32 v2, vcc, v2, v4
	v_lshl_add_u64 v[6:7], v[10:11], 0, v[0:1]
	s_nop 0
	v_subb_co_u32_e32 v3, vcc, v3, v5, vcc
	v_cmp_gt_i64_e32 vcc, 1, v[2:3]
	v_lshl_add_u64 v[0:1], v[0:1], 0, v[4:5]
	s_or_b64 s[0:1], vcc, s[0:1]
	s_waitcnt vmcnt(0) lgkmcnt(0)
	flat_store_byte v[6:7], v8 nt
	s_andn2_b64 exec, exec, s[0:1]
	s_cbranch_execnz .LBB12_36
.LBB12_37:
	s_or_b64 exec, exec, s[4:5]
                                        ; implicit-def: $vgpr36_vgpr37
                                        ; implicit-def: $vgpr34_vgpr35
                                        ; implicit-def: $vgpr14_vgpr15
                                        ; implicit-def: $vgpr4_vgpr5
                                        ; implicit-def: $vgpr23
                                        ; implicit-def: $vgpr0
                                        ; implicit-def: $vgpr31
                                        ; implicit-def: $vgpr12_vgpr13
                                        ; implicit-def: $vgpr8_vgpr9
                                        ; implicit-def: $vgpr2_vgpr3
                                        ; implicit-def: $vgpr37
.LBB12_38:
	s_andn2_saveexec_b64 s[46:47], s[2:3]
	s_cbranch_execz .LBB12_1037
; %bb.39:
	s_trap 2
	ds_read_b64 v[6:7], v0
	s_waitcnt lgkmcnt(0)
	v_cmp_ne_u32_e32 vcc, -1, v6
	s_nop 1
	v_cndmask_b32_e64 v80, 0, 1, vcc
	v_cmp_ne_u32_e32 vcc, -1, v7
	s_nop 1
	v_addc_co_u32_e64 v1, s[0:1], 0, v80, vcc
	v_lshlrev_b32_e32 v6, 1, v1
	v_cmp_le_u32_e64 s[0:1], v6, v23
	s_and_saveexec_b64 s[2:3], s[0:1]
	s_xor_b64 s[56:57], exec, s[2:3]
	s_cbranch_execz .LBB12_1034
; %bb.40:
	flat_load_dwordx2 v[26:27], v[2:3] offset:104
	s_trap 2
	s_load_dword s0, s[8:9], 0x0
	v_mov_b32_e32 v6, 0
	v_mov_b32_e32 v114, 4
	s_waitcnt lgkmcnt(0)
	s_cmp_lt_u32 s12, s0
	s_cselect_b32 s0, 12, 18
	s_add_u32 s0, s8, s0
	s_addc_u32 s1, s9, 0
	global_load_ushort v30, v6, s[0:1]
	ds_read_b32 v6, v0
	v_cmp_ge_i32_e64 s[0:1], v0, v80
	s_waitcnt lgkmcnt(0)
	v_readfirstlane_b32 s18, v6
	s_and_saveexec_b64 s[2:3], s[0:1]
	s_cbranch_execz .LBB12_50
; %bb.41:
	v_cmp_ge_u32_e64 s[0:1], v0, v1
                                        ; implicit-def: $vgpr114
	s_and_saveexec_b64 s[4:5], s[0:1]
	s_xor_b64 s[0:1], exec, s[4:5]
	s_cbranch_execz .LBB12_47
; %bb.42:
	v_cndmask_b32_e64 v6, 0, 1, vcc
	v_sub_u32_e32 v6, v23, v6
	v_cmp_ge_u32_e32 vcc, v0, v6
	s_and_saveexec_b64 s[4:5], vcc
	s_xor_b64 s[4:5], exec, s[4:5]
; %bb.43:
                                        ; implicit-def: $vgpr1
; %bb.44:
	s_or_saveexec_b64 s[4:5], s[4:5]
	v_mov_b32_e32 v114, 16
	s_xor_b64 exec, exec, s[4:5]
; %bb.45:
	v_sub_u32_e32 v1, v23, v1
	v_cmp_lt_i32_e32 vcc, v0, v1
	s_nop 1
	v_cndmask_b32_e64 v114, 32, 0, vcc
; %bb.46:
	s_or_b64 exec, exec, s[4:5]
.LBB12_47:
	s_andn2_saveexec_b64 s[0:1], s[0:1]
; %bb.48:
	v_mov_b32_e32 v114, 8
; %bb.49:
	s_or_b64 exec, exec, s[0:1]
.LBB12_50:
	s_or_b64 exec, exec, s[2:3]
	v_and_b32_e32 v1, 36, v114
	v_cmp_ne_u32_e32 vcc, 0, v1
	v_mov_b32_e32 v38, -1
	s_and_saveexec_b64 s[0:1], vcc
	s_cbranch_execz .LBB12_52
; %bb.51:
	s_trap 2
	ds_read_b32 v38, v0
.LBB12_52:
	s_or_b64 exec, exec, s[0:1]
	v_and_b32_e32 v1, 24, v114
	v_cmp_ne_u32_e64 s[0:1], 0, v1
	s_and_saveexec_b64 s[2:3], s[0:1]
	s_cbranch_execz .LBB12_54
; %bb.53:
	s_trap 2
	s_waitcnt lgkmcnt(0)
	ds_read_b32 v38, v0
.LBB12_54:
	s_or_b64 exec, exec, s[2:3]
	v_lshrrev_b64 v[6:7], 31, v[8:9]
	v_and_b32_e32 v1, 3, v6
	v_mov_b64_e32 v[18:19], 0
	v_mov_b64_e32 v[6:7], 0
                                        ; implicit-def: $vgpr16_vgpr17
                                        ; implicit-def: $vgpr22
                                        ; implicit-def: $vgpr24_vgpr25
                                        ; implicit-def: $vgpr32_vgpr33
                                        ; implicit-def: $vgpr20_vgpr21
	s_and_saveexec_b64 s[0:1], vcc
	s_cbranch_execz .LBB12_64
; %bb.55:
	s_trap 2
	ds_read_b64 v[6:7], v0
	s_waitcnt lgkmcnt(0)
	v_ashrrev_i32_e32 v39, 31, v38
	v_and_b32_e32 v8, 0xffff, v1
	s_movk_i32 s2, 0xa8
                                        ; implicit-def: $vgpr16_vgpr17
	v_lshl_add_u64 v[6:7], v[38:39], 3, v[6:7]
	flat_load_dwordx2 v[6:7], v[6:7]
	s_waitcnt vmcnt(0) lgkmcnt(0)
	v_mad_u64_u32 v[28:29], s[2:3], v8, s2, v[6:7]
	flat_load_dword v6, v[28:29] offset:640
	s_waitcnt vmcnt(0) lgkmcnt(0)
	v_cmp_eq_u32_e32 vcc, 1, v6
	s_and_saveexec_b64 s[2:3], vcc
	s_cbranch_execz .LBB12_57
; %bb.56:
	flat_load_dwordx2 v[16:17], v[28:29] offset:648
	v_or_b32_e32 v114, 0x2000, v114
	s_waitcnt vmcnt(0) lgkmcnt(0)
	flat_load_dwordx2 v[6:7], v[16:17]
	s_trap 2
	s_waitcnt vmcnt(0) lgkmcnt(0)
	ds_write_b64 v0, v[6:7]
	flat_load_dwordx2 v[6:7], v[16:17] offset:8
	s_waitcnt vmcnt(0) lgkmcnt(0)
	ds_write_b64 v0, v[6:7]
	flat_load_dwordx2 v[6:7], v[16:17] offset:16
	s_waitcnt vmcnt(0) lgkmcnt(0)
	ds_write_b64 v0, v[6:7]
.LBB12_57:
	s_or_b64 exec, exec, s[2:3]
	flat_load_dwordx2 v[8:9], v[28:29] offset:608
	v_and_b32_e32 v6, 32, v114
	v_cmp_ne_u32_e32 vcc, 0, v6
                                        ; implicit-def: $vgpr20_vgpr21
	s_and_saveexec_b64 s[2:3], vcc
	s_cbranch_execz .LBB12_59
; %bb.58:
	flat_load_dwordx2 v[20:21], v[28:29] offset:560
	s_waitcnt vmcnt(0) lgkmcnt(0)
	flat_store_dwordx2 v[20:21], v[8:9] sc0 sc1
.LBB12_59:
	s_or_b64 exec, exec, s[2:3]
	s_mov_b64 s[2:3], 0x1f8
	v_and_b32_e32 v6, 4, v114
	v_lshl_add_u64 v[18:19], v[28:29], 0, s[2:3]
	v_cmp_ne_u32_e32 vcc, 0, v6
	v_mov_b64_e32 v[6:7], 0
                                        ; implicit-def: $vgpr22
                                        ; implicit-def: $vgpr24_vgpr25
                                        ; implicit-def: $vgpr32_vgpr33
	s_and_saveexec_b64 s[2:3], vcc
	s_cbranch_execz .LBB12_63
; %bb.60:
	v_and_b32_e32 v6, 0x800, v114
	v_cmp_eq_u32_e32 vcc, 0, v6
	s_and_saveexec_b64 s[4:5], vcc
	s_cbranch_execz .LBB12_62
; %bb.61:
	s_trap 2
	ds_write_b64 v0, v[18:19]
.LBB12_62:
	s_or_b64 exec, exec, s[4:5]
	flat_load_dwordx2 v[20:21], v[28:29] offset:552
	s_waitcnt vmcnt(0) lgkmcnt(0)
	flat_load_dwordx2 v[32:33], v[20:21] sc0 sc1
	flat_load_dwordx2 v[6:7], v[28:29] offset:600
	flat_load_dword v22, v[28:29] offset:576
	flat_load_dwordx2 v[24:25], v[28:29] offset:520
	v_or_b32_e32 v28, 0x100, v114
	s_waitcnt vmcnt(0) lgkmcnt(0)
	v_cmp_eq_u64_e32 vcc, 0, v[6:7]
	s_nop 1
	v_cndmask_b32_e32 v114, v28, v114, vcc
.LBB12_63:
	s_or_b64 exec, exec, s[2:3]
.LBB12_64:
	s_or_b64 exec, exec, s[0:1]
	v_and_b32_e32 v28, 24, v114
	v_cmp_ne_u32_e32 vcc, 0, v28
                                        ; implicit-def: $vgpr28_vgpr29
	s_and_saveexec_b64 s[0:1], vcc
	s_cbranch_execz .LBB12_72
; %bb.65:
	s_trap 2
	ds_read_b64 v[6:7], v0
	s_waitcnt lgkmcnt(0)
	v_ashrrev_i32_e32 v39, 31, v38
	v_and_b32_e32 v1, 0xffff, v1
	s_movk_i32 s2, 0xa8
                                        ; implicit-def: $vgpr28_vgpr29
	v_lshl_add_u64 v[6:7], v[38:39], 3, v[6:7]
	flat_load_dwordx2 v[6:7], v[6:7]
	s_waitcnt vmcnt(0) lgkmcnt(0)
	v_mad_u64_u32 v[18:19], s[2:3], v1, s2, v[6:7]
	flat_load_dwordx4 v[6:9], v[18:19] offset:96
	v_or_b32_e32 v1, 0x100, v114
	s_waitcnt vmcnt(0) lgkmcnt(0)
	v_cmp_eq_u64_e32 vcc, 0, v[6:7]
	s_nop 1
	v_cndmask_b32_e32 v114, v1, v114, vcc
	v_and_b32_e32 v1, 16, v114
	v_cmp_ne_u32_e32 vcc, 0, v1
	s_and_saveexec_b64 s[2:3], vcc
	s_cbranch_execz .LBB12_67
; %bb.66:
	flat_load_dwordx2 v[20:21], v[18:19] offset:48
	flat_load_dwordx2 v[28:29], v[18:19] offset:120
	;; [unrolled: 1-line block ×3, first 2 shown]
.LBB12_67:
	s_or_b64 exec, exec, s[2:3]
	v_and_b32_e32 v1, 8, v114
	v_cmp_ne_u32_e32 vcc, 0, v1
	s_and_saveexec_b64 s[2:3], vcc
	s_cbranch_execz .LBB12_71
; %bb.68:
	v_and_b32_e32 v1, 0x800, v114
	v_cmp_eq_u32_e32 vcc, 0, v1
	s_and_saveexec_b64 s[4:5], vcc
	s_cbranch_execz .LBB12_70
; %bb.69:
	s_trap 2
	ds_write_b64 v0, v[18:19]
.LBB12_70:
	s_or_b64 exec, exec, s[4:5]
	s_waitcnt vmcnt(0) lgkmcnt(0)
	flat_load_dwordx2 v[20:21], v[18:19] offset:56
	s_waitcnt vmcnt(0) lgkmcnt(0)
	flat_load_dwordx2 v[32:33], v[20:21] sc0 sc1
	flat_load_dword v22, v[18:19] offset:72
	flat_load_dwordx2 v[24:25], v[18:19] offset:16
.LBB12_71:
	s_or_b64 exec, exec, s[2:3]
.LBB12_72:
	s_or_b64 exec, exec, s[0:1]
	v_cmp_eq_u32_e64 s[0:1], 0, v0
	s_and_saveexec_b64 s[2:3], s[0:1]
	s_cbranch_execz .LBB12_74
; %bb.73:
	s_waitcnt lgkmcnt(0)
	flat_load_dwordx2 v[38:39], v[2:3] offset:32
	v_mov_b32_e32 v48, v12
	v_mov_b32_e32 v49, v13
	;; [unrolled: 1-line block ×4, first 2 shown]
	ds_write2_b64 v0, v[48:49], v[50:51] offset1:1
	s_trap 2
	s_waitcnt vmcnt(0) lgkmcnt(0)
	ds_write_b64 v0, v[38:39]
	ds_write_b64 v0, v[26:27]
.LBB12_74:
	s_or_b64 exec, exec, s[2:3]
	s_waitcnt vmcnt(0)
	v_mov_b64_e32 v[26:27], 0
	v_cmp_ne_u64_e32 vcc, 0, v[4:5]
	s_trap 2
	s_and_saveexec_b64 s[58:59], vcc
	s_cbranch_execz .LBB12_1000
; %bb.75:
	flat_load_dword v2, v[2:3] offset:4
	s_waitcnt lgkmcnt(0)
	v_lshlrev_b32_e32 v38, 9, v36
	v_ashrrev_i32_e32 v50, 31, v0
	v_cvt_f64_u32_e32 v[48:49], 0
	v_and_b32_e32 v38, 0x3ffffe00, v38
	v_lshrrev_b32_e32 v53, 26, v50
	s_ashr_i32 s19, s18, 31
	v_cmp_ne_u64_e32 vcc, v[12:13], v[10:11]
	v_ldexp_f64 v[10:11], v[48:49], 32
	v_cvt_f64_u32_e32 v[12:13], v38
	v_add_u32_e32 v65, v0, v53
	v_cmp_ne_u32_e64 s[2:3], v34, v37
	v_lshrrev_b32_e32 v34, 6, v23
	s_lshr_b32 s19, s19, 24
	v_add_f64 v[66:67], v[10:11], v[12:13]
	v_ashrrev_i32_e32 v40, 6, v65
	v_and_b32_e32 v10, 0xffffffc0, v65
	v_and_b32_e32 v115, 0x3fc0, v23
	s_xor_b64 s[20:21], s[16:17], -1
	v_lshlrev_b32_e32 v119, 10, v34
	s_add_i32 s18, s18, s19
	v_sub_u32_e32 v41, v0, v10
	v_lshlrev_b32_e32 v10, 12, v40
	v_subrev_u32_e32 v52, 64, v115
	s_and_b64 s[76:77], s[20:21], vcc
	v_add_u32_e32 v64, 0xfffffc00, v119
	s_ashr_i32 s71, s18, 8
	v_cmp_lt_i32_e64 s[18:19], v41, v80
	v_cmp_le_i32_e64 s[20:21], v41, v80
	v_lshl_add_u32 v80, v41, 4, v10
	v_mov_b32_e32 v3, 0
	v_cmp_ne_u32_e64 s[4:5], v35, v37
	v_and_b32_e32 v35, 63, v31
	s_mov_b64 s[62:63], 0x400
	v_ashrrev_i32_e32 v53, 31, v52
	v_ashrrev_i32_e32 v65, 31, v64
	v_add_u32_e32 v82, v80, v10
	v_ashrrev_i32_e32 v1, 31, v22
	v_cmp_eq_u32_e64 s[6:7], 64, v23
	v_cmp_ne_u32_e64 s[10:11], 64, v23
	v_cmp_ne_u32_sdwa s[60:61], v23, v30 src0_sel:DWORD src1_sel:WORD_0
	s_movk_i32 s68, 0xffc0
	s_movk_i32 s69, 0xfc00
	s_mov_b64 s[72:73], 0
	v_cmp_eq_u64_e64 s[12:13], 0, v[28:29]
	v_cmp_ne_u64_e64 s[14:15], 0, v[28:29]
	v_mov_b64_e32 v[36:37], 0
	v_mov_b64_e32 v[26:27], 0
	s_movk_i32 s70, 0x108
	v_mov_b32_e32 v116, 1
	s_mov_b64 s[74:75], 0x7c0
	v_mov_b32_e32 v117, 0xd0
	v_mov_b32_e32 v118, 0x88
	;; [unrolled: 1-line block ×3, first 2 shown]
	v_cmp_eq_u32_e64 s[16:17], 0, v35
	v_mov_b32_e32 v35, v3
	v_lshlrev_b32_e32 v48, 12, v34
	v_mov_b32_e32 v49, v3
	v_lshlrev_b32_e32 v50, 11, v34
	;; [unrolled: 2-line block ×3, first 2 shown]
	v_mov_b32_e32 v55, v3
	v_mov_b32_e32 v56, v3
	v_lshl_add_u64 v[68:69], v[52:53], 0, 64
	v_lshl_add_u64 v[70:71], v[64:65], 0, s[62:63]
	v_cmp_gt_i32_e64 s[22:23], 1, v41
	v_ashrrev_i32_e32 v81, 31, v80
	v_ashrrev_i32_e32 v83, 31, v82
	v_mov_b32_e32 v57, v3
	s_trap 2
	s_waitcnt vmcnt(0)
	v_and_b32_e32 v2, 1, v2
	v_cmp_eq_u32_e64 s[24:25], 1, v2
	s_xor_b64 s[78:79], s[24:25], -1
	s_branch .LBB12_77
.LBB12_76:                              ;   in Loop: Header=BB12_77 Depth=1
	s_or_b64 exec, exec, s[26:27]
	v_lshl_add_u64 v[36:37], v[36:37], 0, v[38:39]
	v_cmp_ge_u64_e32 vcc, v[36:37], v[4:5]
	s_or_b64 s[72:73], vcc, s[72:73]
	s_andn2_b64 exec, exec, s[72:73]
	s_cbranch_execz .LBB12_999
.LBB12_77:                              ; =>This Loop Header: Depth=1
                                        ;     Child Loop BB12_96 Depth 2
                                        ;     Child Loop BB12_131 Depth 2
	;; [unrolled: 1-line block ×9, first 2 shown]
                                        ;       Child Loop BB12_220 Depth 3
                                        ;     Child Loop BB12_230 Depth 2
                                        ;     Child Loop BB12_235 Depth 2
                                        ;       Child Loop BB12_236 Depth 3
                                        ;     Child Loop BB12_281 Depth 2
                                        ;     Child Loop BB12_389 Depth 2
	;; [unrolled: 1-line block ×26, first 2 shown]
                                        ;       Child Loop BB12_308 Depth 3
                                        ;     Child Loop BB12_318 Depth 2
                                        ;     Child Loop BB12_323 Depth 2
                                        ;       Child Loop BB12_324 Depth 3
                                        ;     Child Loop BB12_370 Depth 2
                                        ;     Child Loop BB12_408 Depth 2
	;; [unrolled: 1-line block ×17, first 2 shown]
	v_sub_co_u32_e32 v2, vcc, v4, v36
	v_cvt_f64_u32_e32 v[84:85], v2
	s_nop 0
	v_subb_co_u32_e32 v12, vcc, v5, v37, vcc
	v_cvt_f64_u32_e32 v[12:13], v12
	v_ldexp_f64 v[12:13], v[12:13], 32
	v_add_f64 v[12:13], v[12:13], v[84:85]
	v_max_f64 v[84:85], v[66:67], v[66:67]
	v_min_f64 v[12:13], v[84:85], v[12:13]
	v_cvt_i32_f64_e32 v2, v[12:13]
	v_max_i32_e32 v42, 0, v2
	v_add_u32_e32 v12, 15, v42
	v_ashrrev_i32_e32 v13, 31, v12
	v_lshrrev_b32_e32 v13, 28, v13
	v_add_u32_e32 v12, v12, v13
	v_and_b32_e32 v12, -16, v12
	v_lshl_add_u64 v[10:11], v[36:37], 0, v[14:15]
	v_max_i32_e32 v84, s71, v12
	v_cmp_gt_i32_e64 s[26:27], 1, v2
	v_cmp_lt_i32_e64 s[28:29], 0, v2
	s_mov_b64 s[88:89], 0
	s_and_saveexec_b64 s[40:41], s[2:3]
	s_xor_b64 s[90:91], exec, s[40:41]
	s_cbranch_execz .LBB12_85
; %bb.78:                               ;   in Loop: Header=BB12_77 Depth=1
	s_mov_b64 s[42:43], 0
	s_and_saveexec_b64 s[40:41], s[4:5]
	s_xor_b64 s[88:89], exec, s[40:41]
	s_cbranch_execz .LBB12_566
; %bb.79:                               ;   in Loop: Header=BB12_77 Depth=1
	v_mov_b32_e32 v2, 0
	s_and_saveexec_b64 s[92:93], s[28:29]
	s_cbranch_execz .LBB12_424
; %bb.80:                               ;   in Loop: Header=BB12_77 Depth=1
	s_and_saveexec_b64 s[40:41], s[0:1]
	s_cbranch_execz .LBB12_82
; %bb.81:                               ;   in Loop: Header=BB12_77 Depth=1
	s_trap 2
	ds_read_b128 v[96:99], v0
	s_waitcnt lgkmcnt(0)
	v_lshl_add_u64 v[12:13], v[96:97], 0, v[10:11]
	v_lshl_add_u64 v[10:11], v[98:99], 0, v[10:11]
	v_cmp_ne_u64_e32 vcc, 0, v[98:99]
	ds_write_b64 v0, v[12:13]
	s_nop 0
	v_cndmask_b32_e32 v11, 0, v11, vcc
	v_cndmask_b32_e32 v10, 0, v10, vcc
	ds_write_b64 v0, v[10:11]
.LBB12_82:                              ;   in Loop: Header=BB12_77 Depth=1
	s_or_b64 exec, exec, s[40:41]
	v_and_b32_e32 v2, 12, v114
	v_min_i32_e32 v84, v84, v42
	v_cmp_ne_u32_e32 vcc, 0, v2
	s_and_saveexec_b64 s[42:43], vcc
	s_cbranch_execz .LBB12_123
; %bb.83:                               ;   in Loop: Header=BB12_77 Depth=1
	v_and_b32_e32 v2, 8, v114
	s_waitcnt vmcnt(0) lgkmcnt(0)
	v_lshl_add_u64 v[12:13], v[32:33], 0, v[2:3]
	v_lshl_add_u64 v[10:11], v[8:9], 0, 1
	v_cmp_lt_u64_e32 vcc, v[12:13], v[10:11]
	s_and_saveexec_b64 s[44:45], vcc
	s_cbranch_execz .LBB12_110
; %bb.84:                               ;   in Loop: Header=BB12_77 Depth=1
	v_and_b32_e32 v9, 64, v114
	s_mov_b32 s64, 0
	v_cmp_eq_u32_e32 vcc, 0, v9
	s_mov_b64 s[94:95], 0
                                        ; implicit-def: $sgpr30_sgpr31
                                        ; implicit-def: $sgpr34_sgpr35
                                        ; implicit-def: $sgpr36_sgpr37
	s_branch .LBB12_96
.LBB12_85:                              ;   in Loop: Header=BB12_77 Depth=1
	s_andn2_saveexec_b64 s[90:91], s[90:91]
	s_cbranch_execz .LBB12_997
.LBB12_86:                              ;   in Loop: Header=BB12_77 Depth=1
	s_mov_b64 s[42:43], 0
	s_mov_b64 s[40:41], s[88:89]
	s_and_saveexec_b64 s[44:45], s[76:77]
	s_xor_b64 s[92:93], exec, s[44:45]
	s_cbranch_execz .LBB12_615
; %bb.87:                               ;   in Loop: Header=BB12_77 Depth=1
	v_mov_b32_e32 v2, 0
	s_and_saveexec_b64 s[94:95], s[28:29]
	s_cbranch_execz .LBB12_478
; %bb.88:                               ;   in Loop: Header=BB12_77 Depth=1
	s_and_saveexec_b64 s[40:41], s[0:1]
	s_cbranch_execz .LBB12_90
; %bb.89:                               ;   in Loop: Header=BB12_77 Depth=1
	s_trap 2
	ds_read2_b64 v[96:99], v0 offset1:1
	ds_read_b64 v[12:13], v0
	s_waitcnt lgkmcnt(0)
	v_lshl_add_u64 v[86:87], v[96:97], 0, v[10:11]
	v_lshl_add_u64 v[96:97], v[98:99], 0, v[10:11]
	v_lshl_add_u64 v[10:11], v[12:13], 0, v[10:11]
	v_cmp_ne_u64_e32 vcc, 0, v[12:13]
	ds_write_b64 v0, v[86:87]
	ds_write_b64 v0, v[96:97]
	v_cndmask_b32_e32 v11, 0, v11, vcc
	v_cndmask_b32_e32 v10, 0, v10, vcc
	ds_write_b64 v0, v[10:11]
.LBB12_90:                              ;   in Loop: Header=BB12_77 Depth=1
	s_or_b64 exec, exec, s[40:41]
	v_and_b32_e32 v2, 8, v114
	v_min_i32_e32 v84, v84, v42
	v_cmp_ne_u32_e32 vcc, 0, v2
	s_and_saveexec_b64 s[42:43], vcc
	s_cbranch_execz .LBB12_147
; %bb.91:                               ;   in Loop: Header=BB12_77 Depth=1
	s_waitcnt vmcnt(0) lgkmcnt(0)
	v_lshl_add_u64 v[12:13], v[32:33], 0, 8
	v_lshl_add_u64 v[10:11], v[8:9], 0, 1
	v_cmp_lt_u64_e32 vcc, v[12:13], v[10:11]
	s_and_saveexec_b64 s[44:45], vcc
	s_cbranch_execz .LBB12_138
; %bb.92:                               ;   in Loop: Header=BB12_77 Depth=1
	v_and_b32_e32 v2, 64, v114
	s_mov_b32 s66, 0
	v_cmp_eq_u32_e32 vcc, 0, v2
	s_mov_b64 s[30:31], 0
                                        ; implicit-def: $sgpr34_sgpr35
                                        ; implicit-def: $sgpr36_sgpr37
                                        ; implicit-def: $sgpr38_sgpr39
	s_branch .LBB12_103
.LBB12_93:                              ;   in Loop: Header=BB12_96 Depth=2
	s_waitcnt vmcnt(0) lgkmcnt(0)
	v_lshl_add_u64 v[12:13], v[32:33], 0, v[2:3]
	v_cmp_ge_u64_e64 s[40:41], v[12:13], v[10:11]
	s_or_b64 s[50:51], s[50:51], exec
	s_orn2_b64 s[48:49], s[40:41], exec
.LBB12_94:                              ;   in Loop: Header=BB12_96 Depth=2
	s_or_b64 exec, exec, s[54:55]
	s_andn2_b64 s[40:41], s[36:37], exec
	s_and_b64 s[36:37], s[50:51], exec
	s_or_b64 s[36:37], s[40:41], s[36:37]
	s_andn2_b64 s[40:41], s[34:35], exec
	s_and_b64 s[34:35], s[48:49], exec
	s_or_b64 s[34:35], s[40:41], s[34:35]
.LBB12_95:                              ;   in Loop: Header=BB12_96 Depth=2
	s_or_b64 exec, exec, s[38:39]
	s_and_b64 s[40:41], exec, s[34:35]
	s_or_b64 s[94:95], s[40:41], s[94:95]
	s_andn2_b64 s[40:41], s[30:31], exec
	s_and_b64 s[30:31], s[36:37], exec
	s_or_b64 s[30:31], s[40:41], s[30:31]
	s_andn2_b64 exec, exec, s[94:95]
	s_cbranch_execz .LBB12_107
.LBB12_96:                              ;   Parent Loop BB12_77 Depth=1
                                        ; =>  This Inner Loop Header: Depth=2
	s_sleep 1
	s_waitcnt vmcnt(0) lgkmcnt(0)
	flat_load_dwordx2 v[32:33], v[20:21] sc0 sc1
	s_or_b64 s[36:37], s[36:37], exec
	s_or_b64 s[34:35], s[34:35], exec
                                        ; implicit-def: $vgpr9
	s_and_saveexec_b64 s[38:39], vcc
	s_cbranch_execz .LBB12_95
; %bb.97:                               ;   in Loop: Header=BB12_96 Depth=2
	s_cmpk_lt_i32 s64, 0x270f
	s_cselect_b64 s[52:53], -1, 0
	s_cmpk_gt_i32 s64, 0x270e
	s_mov_b64 s[48:49], -1
	s_cbranch_scc0 .LBB12_99
; %bb.98:                               ;   in Loop: Header=BB12_96 Depth=2
	s_trap 2
	ds_read_b64 v[12:13], v0
	s_andn2_b64 s[52:53], s[52:53], exec
	s_mov_b32 s64, 0
	s_mov_b64 s[50:51], 0
	s_waitcnt vmcnt(0) lgkmcnt(0)
	flat_load_dword v9, v[12:13] sc0 sc1
	s_waitcnt vmcnt(0) lgkmcnt(0)
	buffer_inv sc0 sc1
	v_cmp_eq_u32_e64 s[40:41], 0, v9
	s_and_b64 s[40:41], s[40:41], exec
	s_or_b64 s[52:53], s[52:53], s[40:41]
	s_and_saveexec_b64 s[54:55], s[52:53]
	s_cbranch_execz .LBB12_94
	s_branch .LBB12_93
.LBB12_99:                              ;   in Loop: Header=BB12_96 Depth=2
	s_add_i32 s64, s64, 1
	s_mov_b64 s[50:51], -1
                                        ; implicit-def: $vgpr9
	s_and_saveexec_b64 s[54:55], s[52:53]
	s_cbranch_execz .LBB12_94
	s_branch .LBB12_93
.LBB12_100:                             ;   in Loop: Header=BB12_103 Depth=2
	s_waitcnt vmcnt(0) lgkmcnt(0)
	v_lshl_add_u64 v[12:13], v[32:33], 0, 8
	v_cmp_ge_u64_e64 s[40:41], v[12:13], v[10:11]
	s_or_b64 s[52:53], s[52:53], exec
	s_orn2_b64 s[50:51], s[40:41], exec
.LBB12_101:                             ;   in Loop: Header=BB12_103 Depth=2
	s_or_b64 exec, exec, s[64:65]
	s_andn2_b64 s[40:41], s[38:39], exec
	s_and_b64 s[38:39], s[52:53], exec
	s_or_b64 s[38:39], s[40:41], s[38:39]
	s_andn2_b64 s[40:41], s[36:37], exec
	s_and_b64 s[36:37], s[50:51], exec
	s_or_b64 s[36:37], s[40:41], s[36:37]
.LBB12_102:                             ;   in Loop: Header=BB12_103 Depth=2
	s_or_b64 exec, exec, s[48:49]
	s_and_b64 s[40:41], exec, s[36:37]
	s_or_b64 s[30:31], s[40:41], s[30:31]
	s_andn2_b64 s[40:41], s[34:35], exec
	s_and_b64 s[34:35], s[38:39], exec
	s_or_b64 s[34:35], s[40:41], s[34:35]
	s_andn2_b64 exec, exec, s[30:31]
	s_cbranch_execz .LBB12_135
.LBB12_103:                             ;   Parent Loop BB12_77 Depth=1
                                        ; =>  This Inner Loop Header: Depth=2
	s_sleep 1
	s_waitcnt vmcnt(0) lgkmcnt(0)
	flat_load_dwordx2 v[32:33], v[20:21] sc0 sc1
	s_or_b64 s[38:39], s[38:39], exec
	s_or_b64 s[36:37], s[36:37], exec
                                        ; implicit-def: $vgpr2
	s_and_saveexec_b64 s[48:49], vcc
	s_cbranch_execz .LBB12_102
; %bb.104:                              ;   in Loop: Header=BB12_103 Depth=2
	s_cmpk_lt_i32 s66, 0x270f
	s_cselect_b64 s[54:55], -1, 0
	s_cmpk_gt_i32 s66, 0x270e
	s_mov_b64 s[50:51], -1
	s_cbranch_scc0 .LBB12_106
; %bb.105:                              ;   in Loop: Header=BB12_103 Depth=2
	s_trap 2
	ds_read_b64 v[12:13], v0
	s_andn2_b64 s[54:55], s[54:55], exec
	s_mov_b32 s66, 0
	s_mov_b64 s[52:53], 0
	s_waitcnt vmcnt(0) lgkmcnt(0)
	flat_load_dword v2, v[12:13] sc0 sc1
	s_waitcnt vmcnt(0) lgkmcnt(0)
	buffer_inv sc0 sc1
	v_cmp_eq_u32_e64 s[40:41], 0, v2
	s_and_b64 s[40:41], s[40:41], exec
	s_or_b64 s[54:55], s[54:55], s[40:41]
	s_and_saveexec_b64 s[64:65], s[54:55]
	s_cbranch_execz .LBB12_101
	s_branch .LBB12_100
.LBB12_106:                             ;   in Loop: Header=BB12_103 Depth=2
	s_add_i32 s66, s66, 1
	s_mov_b64 s[52:53], -1
                                        ; implicit-def: $vgpr2
	s_and_saveexec_b64 s[64:65], s[54:55]
	s_cbranch_execz .LBB12_101
	s_branch .LBB12_100
.LBB12_107:                             ;   in Loop: Header=BB12_77 Depth=1
	s_or_b64 exec, exec, s[94:95]
	s_xor_b64 s[40:41], s[30:31], -1
	s_and_saveexec_b64 s[94:95], s[40:41]
	s_xor_b64 s[40:41], exec, s[94:95]
	s_cbranch_execz .LBB12_109
; %bb.108:                              ;   in Loop: Header=BB12_77 Depth=1
	v_or_b32_e32 v114, 64, v114
	s_waitcnt lgkmcnt(0)
	ds_write_b32 v0, v9
	s_trap 2
.LBB12_109:                             ;   in Loop: Header=BB12_77 Depth=1
	s_or_b64 exec, exec, s[40:41]
.LBB12_110:                             ;   in Loop: Header=BB12_77 Depth=1
	s_or_b64 exec, exec, s[44:45]
	v_and_b32_e32 v9, 0x108, v114
	v_cmp_ne_u32_e32 vcc, s70, v9
	;;#ASMSTART
	s_wakeup
	;;#ASMEND
                                        ; implicit-def: $vgpr12_vgpr13
	s_and_saveexec_b64 s[40:41], vcc
	s_xor_b64 s[40:41], exec, s[40:41]
; %bb.111:                              ;   in Loop: Header=BB12_77 Depth=1
	v_and_b32_e32 v12, 7, v8
	v_mov_b32_e32 v13, v3
; %bb.112:                              ;   in Loop: Header=BB12_77 Depth=1
	s_andn2_saveexec_b64 s[40:41], s[40:41]
	s_cbranch_execz .LBB12_114
; %bb.113:                              ;   in Loop: Header=BB12_77 Depth=1
	v_and_b32_e32 v12, 7, v8
	v_mov_b32_e32 v13, v3
	v_mad_u64_u32 v[8:9], s[44:45], v12, 24, v[6:7]
	v_ashrrev_i32_e32 v85, 31, v84
	flat_store_dwordx2 v[8:9], v[84:85] offset:8
.LBB12_114:                             ;   in Loop: Header=BB12_77 Depth=1
	s_or_b64 exec, exec, s[40:41]
	v_and_b32_e32 v8, 0x100, v114
	v_cmp_ne_u32_e32 vcc, 0, v8
	s_mov_b64 s[40:41], -1
                                        ; implicit-def: $vgpr8_vgpr9
	s_and_saveexec_b64 s[44:45], vcc
	s_cbranch_execz .LBB12_118
; %bb.115:                              ;   in Loop: Header=BB12_77 Depth=1
	v_mad_u64_u32 v[86:87], s[40:41], v12, 24, v[6:7]
	v_mov_b32_e32 v8, v87
	v_mad_u64_u32 v[8:9], s[40:41], v13, 24, v[8:9]
	v_mov_b32_e32 v87, v8
	flat_load_dword v8, v[86:87]
	s_waitcnt vmcnt(0) lgkmcnt(0)
	v_cmp_ne_u32_e32 vcc, 1, v8
	v_cmp_eq_u32_e64 s[40:41], 1, v8
                                        ; implicit-def: $vgpr8_vgpr9
	s_and_saveexec_b64 s[94:95], s[40:41]
	s_cbranch_execz .LBB12_117
; %bb.116:                              ;   in Loop: Header=BB12_77 Depth=1
	flat_load_dword v8, v[86:87] offset:4 sc0 sc1
	s_waitcnt vmcnt(0) lgkmcnt(0)
	v_ashrrev_i32_e32 v9, 31, v8
.LBB12_117:                             ;   in Loop: Header=BB12_77 Depth=1
	s_or_b64 exec, exec, s[94:95]
	s_orn2_b64 s[40:41], vcc, exec
.LBB12_118:                             ;   in Loop: Header=BB12_77 Depth=1
	s_or_b64 exec, exec, s[44:45]
	s_and_saveexec_b64 s[44:45], s[40:41]
; %bb.119:                              ;   in Loop: Header=BB12_77 Depth=1
	v_mul_lo_u32 v13, v13, v22
	v_mul_lo_u32 v85, v12, v1
	v_mad_u64_u32 v[8:9], s[40:41], v12, v22, 0
	v_add3_u32 v9, v9, v85, v13
; %bb.120:                              ;   in Loop: Header=BB12_77 Depth=1
	s_or_b64 exec, exec, s[44:45]
	v_cmp_eq_u32_e32 vcc, 0, v2
	v_lshl_add_u64 v[8:9], v[24:25], 0, v[8:9]
	s_nop 0
	v_cndmask_b32_e32 v2, v117, v118, vcc
	v_add_u32_e32 v2, v0, v2
	ds_write_b64 v2, v[8:9] offset:584
	v_and_b32_e32 v2, 0x2000, v114
	v_cmp_ne_u32_e32 vcc, 0, v2
	s_and_saveexec_b64 s[40:41], vcc
	s_cbranch_execz .LBB12_122
; %bb.121:                              ;   in Loop: Header=BB12_77 Depth=1
	ds_read_b64 v[8:9], v0 offset:872
	s_waitcnt lgkmcnt(0)
	v_lshl_add_u64 v[8:9], v[8:9], 0, 1
	ds_write_b64 v0, v[8:9] offset:872
.LBB12_122:                             ;   in Loop: Header=BB12_77 Depth=1
	s_or_b64 exec, exec, s[40:41]
	v_mov_b64_e32 v[8:9], v[10:11]
.LBB12_123:                             ;   in Loop: Header=BB12_77 Depth=1
	s_or_b64 exec, exec, s[42:43]
	s_and_saveexec_b64 s[40:41], s[10:11]
	s_cbranch_execz .LBB12_166
; %bb.124:                              ;   in Loop: Header=BB12_77 Depth=1
	s_and_saveexec_b64 s[42:43], s[60:61]
	s_xor_b64 s[42:43], exec, s[42:43]
	s_cbranch_execz .LBB12_163
; %bb.125:                              ;   in Loop: Header=BB12_77 Depth=1
	s_and_saveexec_b64 s[44:45], s[16:17]
	s_cbranch_execz .LBB12_162
; %bb.126:                              ;   in Loop: Header=BB12_77 Depth=1
	s_mov_b64 s[30:31], exec
	v_mbcnt_lo_u32_b32 v2, s30, 0
	v_mbcnt_hi_u32_b32 v2, s31, v2
	v_cmp_eq_u32_e32 vcc, 0, v2
	s_waitcnt lgkmcnt(0)
	s_and_saveexec_b64 s[94:95], vcc
	s_cbranch_execz .LBB12_128
; %bb.127:                              ;   in Loop: Header=BB12_77 Depth=1
	s_bcnt1_i32_b64 vcc_lo, s[30:31]
	v_mov_b32_e32 v2, vcc_lo
	ds_add_u64 v0, v[2:3]
	s_trap 2
.LBB12_128:                             ;   in Loop: Header=BB12_77 Depth=1
	s_or_b64 exec, exec, s[94:95]
	s_trap 2
	ds_read_b64 v[10:11], v0
	s_waitcnt lgkmcnt(0)
	v_lshl_add_u64 v[26:27], v[26:27], 0, v[34:35]
	v_cmp_lt_u64_e32 vcc, v[10:11], v[26:27]
	s_and_saveexec_b64 s[94:95], vcc
	s_cbranch_execz .LBB12_161
; %bb.129:                              ;   in Loop: Header=BB12_77 Depth=1
	s_mov_b32 s50, 0
	s_mov_b64 s[30:31], 0
                                        ; implicit-def: $sgpr34_sgpr35
                                        ; implicit-def: $sgpr36_sgpr37
	s_branch .LBB12_131
.LBB12_130:                             ;   in Loop: Header=BB12_131 Depth=2
	s_or_b64 exec, exec, s[48:49]
	s_and_b64 vcc, exec, vcc
	s_or_b64 s[30:31], vcc, s[30:31]
	s_andn2_b64 vcc, s[34:35], exec
	s_and_b64 s[34:35], s[36:37], exec
	s_or_b64 s[34:35], vcc, s[34:35]
	s_andn2_b64 exec, exec, s[30:31]
	s_cbranch_execz .LBB12_159
.LBB12_131:                             ;   Parent Loop BB12_77 Depth=1
                                        ; =>  This Inner Loop Header: Depth=2
	s_add_i32 s50, s50, 1
	s_cmpk_lg_i32 s50, 0x2710
	s_cselect_b64 s[38:39], -1, 0
	s_and_b64 vcc, exec, s[38:39]
	s_cbranch_vccz .LBB12_133
; %bb.132:                              ;   in Loop: Header=BB12_131 Depth=2
	s_mov_b64 vcc, -1
	s_or_b64 s[36:37], s[36:37], exec
	s_and_saveexec_b64 s[48:49], s[38:39]
	s_cbranch_execz .LBB12_130
	s_branch .LBB12_134
.LBB12_133:                             ;   in Loop: Header=BB12_131 Depth=2
	s_trap 2
	ds_read_b64 v[10:11], v0
	s_andn2_b64 s[38:39], s[38:39], exec
	s_mov_b32 s50, 0
	s_waitcnt vmcnt(0) lgkmcnt(0)
	flat_load_dword v2, v[10:11] sc0 sc1
	s_waitcnt vmcnt(0) lgkmcnt(0)
	buffer_inv sc0 sc1
	v_cmp_eq_u32_e32 vcc, 0, v2
	s_and_b64 vcc, vcc, exec
	s_or_b64 s[38:39], s[38:39], vcc
	s_mov_b64 vcc, -1
	s_or_b64 s[36:37], s[36:37], exec
	s_and_saveexec_b64 s[48:49], s[38:39]
	s_cbranch_execz .LBB12_130
.LBB12_134:                             ;   in Loop: Header=BB12_131 Depth=2
	s_sleep 1
	s_trap 2
	ds_read_b64 v[10:11], v0
	s_waitcnt lgkmcnt(0)
	s_andn2_b64 s[36:37], s[36:37], exec
	v_cmp_ge_u64_e32 vcc, v[10:11], v[26:27]
	s_orn2_b64 vcc, vcc, exec
	s_branch .LBB12_130
.LBB12_135:                             ;   in Loop: Header=BB12_77 Depth=1
	s_or_b64 exec, exec, s[30:31]
	s_xor_b64 s[40:41], s[34:35], -1
	s_and_saveexec_b64 vcc, s[40:41]
	s_xor_b64 s[40:41], exec, vcc
	s_cbranch_execz .LBB12_137
; %bb.136:                              ;   in Loop: Header=BB12_77 Depth=1
	v_or_b32_e32 v114, 64, v114
	s_waitcnt lgkmcnt(0)
	ds_write_b32 v0, v2
	s_trap 2
.LBB12_137:                             ;   in Loop: Header=BB12_77 Depth=1
	s_or_b64 exec, exec, s[40:41]
.LBB12_138:                             ;   in Loop: Header=BB12_77 Depth=1
	s_or_b64 exec, exec, s[44:45]
	v_and_b32_e32 v2, 0x100, v114
	v_cmp_ne_u32_e32 vcc, 0, v2
	v_and_b32_e32 v2, 7, v8
	s_mov_b64 s[40:41], -1
	;;#ASMSTART
	s_wakeup
	;;#ASMEND
                                        ; implicit-def: $vgpr8_vgpr9
	s_and_saveexec_b64 s[44:45], vcc
	s_cbranch_execz .LBB12_142
; %bb.139:                              ;   in Loop: Header=BB12_77 Depth=1
	v_mad_u64_u32 v[12:13], s[40:41], v2, 24, v[6:7]
	flat_load_dword v8, v[12:13]
	v_ashrrev_i32_e32 v85, 31, v84
	flat_store_dwordx2 v[12:13], v[84:85] offset:8
	s_waitcnt vmcnt(0) lgkmcnt(0)
	v_cmp_ne_u32_e32 vcc, 1, v8
	v_cmp_eq_u32_e64 s[40:41], 1, v8
                                        ; implicit-def: $vgpr8_vgpr9
	s_and_saveexec_b64 s[30:31], s[40:41]
	s_cbranch_execz .LBB12_141
; %bb.140:                              ;   in Loop: Header=BB12_77 Depth=1
	flat_load_dword v8, v[12:13] offset:4 sc0 sc1
	s_waitcnt vmcnt(0) lgkmcnt(0)
	v_ashrrev_i32_e32 v9, 31, v8
.LBB12_141:                             ;   in Loop: Header=BB12_77 Depth=1
	s_or_b64 exec, exec, s[30:31]
	s_orn2_b64 s[40:41], vcc, exec
.LBB12_142:                             ;   in Loop: Header=BB12_77 Depth=1
	s_or_b64 exec, exec, s[44:45]
	s_and_saveexec_b64 s[44:45], s[40:41]
; %bb.143:                              ;   in Loop: Header=BB12_77 Depth=1
	v_mad_i64_i32 v[8:9], s[40:41], v2, v22, 0
; %bb.144:                              ;   in Loop: Header=BB12_77 Depth=1
	s_or_b64 exec, exec, s[44:45]
	v_and_b32_e32 v2, 0x2000, v114
	v_lshl_add_u64 v[8:9], v[24:25], 0, v[8:9]
	v_cmp_ne_u32_e32 vcc, 0, v2
	ds_write_b64 v0, v[8:9] offset:792
	s_and_saveexec_b64 s[40:41], vcc
	s_cbranch_execz .LBB12_146
; %bb.145:                              ;   in Loop: Header=BB12_77 Depth=1
	ds_read_b64 v[8:9], v0 offset:872
	s_waitcnt lgkmcnt(0)
	v_lshl_add_u64 v[8:9], v[8:9], 0, 1
	ds_write_b64 v0, v[8:9] offset:872
.LBB12_146:                             ;   in Loop: Header=BB12_77 Depth=1
	s_or_b64 exec, exec, s[40:41]
	v_mov_b64_e32 v[8:9], v[10:11]
.LBB12_147:                             ;   in Loop: Header=BB12_77 Depth=1
	s_or_b64 exec, exec, s[42:43]
	s_and_saveexec_b64 s[40:41], s[10:11]
	s_cbranch_execz .LBB12_185
; %bb.148:                              ;   in Loop: Header=BB12_77 Depth=1
	s_and_saveexec_b64 s[42:43], s[60:61]
	s_xor_b64 s[42:43], exec, s[42:43]
	s_cbranch_execz .LBB12_182
; %bb.149:                              ;   in Loop: Header=BB12_77 Depth=1
	s_and_saveexec_b64 s[44:45], s[16:17]
	s_cbranch_execz .LBB12_181
; %bb.150:                              ;   in Loop: Header=BB12_77 Depth=1
	s_mov_b64 s[34:35], exec
	v_mbcnt_lo_u32_b32 v2, s34, 0
	v_mbcnt_hi_u32_b32 v2, s35, v2
	v_cmp_eq_u32_e32 vcc, 0, v2
	s_waitcnt lgkmcnt(0)
	s_and_saveexec_b64 s[30:31], vcc
	s_cbranch_execz .LBB12_152
; %bb.151:                              ;   in Loop: Header=BB12_77 Depth=1
	s_bcnt1_i32_b64 vcc_lo, s[34:35]
	v_mov_b32_e32 v2, vcc_lo
	ds_add_u64 v0, v[2:3]
	s_trap 2
.LBB12_152:                             ;   in Loop: Header=BB12_77 Depth=1
	s_or_b64 exec, exec, s[30:31]
	s_trap 2
	ds_read_b64 v[10:11], v0
	s_waitcnt lgkmcnt(0)
	v_lshl_add_u64 v[26:27], v[26:27], 0, v[34:35]
	v_cmp_lt_u64_e32 vcc, v[10:11], v[26:27]
	s_and_saveexec_b64 s[30:31], vcc
	s_cbranch_execz .LBB12_180
; %bb.153:                              ;   in Loop: Header=BB12_77 Depth=1
	s_mov_b32 s52, 0
	s_mov_b64 s[34:35], 0
                                        ; implicit-def: $sgpr36_sgpr37
                                        ; implicit-def: $sgpr38_sgpr39
	s_branch .LBB12_155
.LBB12_154:                             ;   in Loop: Header=BB12_155 Depth=2
	s_or_b64 exec, exec, s[50:51]
	s_and_b64 vcc, exec, vcc
	s_or_b64 s[34:35], vcc, s[34:35]
	s_andn2_b64 vcc, s[36:37], exec
	s_and_b64 s[36:37], s[38:39], exec
	s_or_b64 s[36:37], vcc, s[36:37]
	s_andn2_b64 exec, exec, s[34:35]
	s_cbranch_execz .LBB12_178
.LBB12_155:                             ;   Parent Loop BB12_77 Depth=1
                                        ; =>  This Inner Loop Header: Depth=2
	s_add_i32 s52, s52, 1
	s_cmpk_lg_i32 s52, 0x2710
	s_cselect_b64 s[48:49], -1, 0
	s_and_b64 vcc, exec, s[48:49]
	s_cbranch_vccz .LBB12_157
; %bb.156:                              ;   in Loop: Header=BB12_155 Depth=2
	s_mov_b64 vcc, -1
	s_or_b64 s[38:39], s[38:39], exec
	s_and_saveexec_b64 s[50:51], s[48:49]
	s_cbranch_execz .LBB12_154
	s_branch .LBB12_158
.LBB12_157:                             ;   in Loop: Header=BB12_155 Depth=2
	s_trap 2
	ds_read_b64 v[10:11], v0
	s_andn2_b64 s[48:49], s[48:49], exec
	s_mov_b32 s52, 0
	s_waitcnt vmcnt(0) lgkmcnt(0)
	flat_load_dword v2, v[10:11] sc0 sc1
	s_waitcnt vmcnt(0) lgkmcnt(0)
	buffer_inv sc0 sc1
	v_cmp_eq_u32_e32 vcc, 0, v2
	s_and_b64 vcc, vcc, exec
	s_or_b64 s[48:49], s[48:49], vcc
	s_mov_b64 vcc, -1
	s_or_b64 s[38:39], s[38:39], exec
	s_and_saveexec_b64 s[50:51], s[48:49]
	s_cbranch_execz .LBB12_154
.LBB12_158:                             ;   in Loop: Header=BB12_155 Depth=2
	s_sleep 1
	s_trap 2
	ds_read_b64 v[10:11], v0
	s_waitcnt lgkmcnt(0)
	s_andn2_b64 s[38:39], s[38:39], exec
	v_cmp_ge_u64_e32 vcc, v[10:11], v[26:27]
	s_orn2_b64 vcc, vcc, exec
	s_branch .LBB12_154
.LBB12_159:                             ;   in Loop: Header=BB12_77 Depth=1
	s_or_b64 exec, exec, s[30:31]
	s_and_saveexec_b64 vcc, s[34:35]
	s_xor_b64 vcc, exec, vcc
	s_cbranch_execz .LBB12_161
; %bb.160:                              ;   in Loop: Header=BB12_77 Depth=1
	ds_write_b32 v0, v116
	s_trap 2
.LBB12_161:                             ;   in Loop: Header=BB12_77 Depth=1
	s_or_b64 exec, exec, s[94:95]
	;;#ASMSTART
	s_wakeup
	;;#ASMEND
.LBB12_162:                             ;   in Loop: Header=BB12_77 Depth=1
	s_or_b64 exec, exec, s[44:45]
.LBB12_163:                             ;   in Loop: Header=BB12_77 Depth=1
	s_andn2_saveexec_b64 s[42:43], s[42:43]
	s_cbranch_execz .LBB12_165
; %bb.164:                              ;   in Loop: Header=BB12_77 Depth=1
	s_waitcnt lgkmcnt(0)
	s_barrier
.LBB12_165:                             ;   in Loop: Header=BB12_77 Depth=1
	s_or_b64 exec, exec, s[42:43]
.LBB12_166:                             ;   in Loop: Header=BB12_77 Depth=1
	s_or_b64 exec, exec, s[40:41]
	s_trap 2
	ds_read_b32 v10, v0
	v_and_b32_e32 v2, 0x4000, v114
	v_cmp_ne_u32_e32 vcc, 0, v2
	s_xor_b64 s[40:41], s[6:7], -1
	s_and_b64 s[42:43], s[40:41], vcc
	s_and_saveexec_b64 s[40:41], s[42:43]
	s_cbranch_execz .LBB12_204
; %bb.167:                              ;   in Loop: Header=BB12_77 Depth=1
	s_and_saveexec_b64 s[42:43], s[60:61]
	s_xor_b64 s[42:43], exec, s[42:43]
	s_cbranch_execz .LBB12_201
; %bb.168:                              ;   in Loop: Header=BB12_77 Depth=1
	s_and_saveexec_b64 s[44:45], s[16:17]
	s_cbranch_execz .LBB12_200
; %bb.169:                              ;   in Loop: Header=BB12_77 Depth=1
	s_mov_b64 s[30:31], exec
	v_mbcnt_lo_u32_b32 v2, s30, 0
	v_mbcnt_hi_u32_b32 v2, s31, v2
	v_cmp_eq_u32_e32 vcc, 0, v2
	s_waitcnt lgkmcnt(0)
	s_and_saveexec_b64 s[94:95], vcc
	s_cbranch_execz .LBB12_171
; %bb.170:                              ;   in Loop: Header=BB12_77 Depth=1
	s_bcnt1_i32_b64 vcc_lo, s[30:31]
	v_mov_b32_e32 v2, vcc_lo
	ds_add_u64 v0, v[2:3]
	s_trap 2
.LBB12_171:                             ;   in Loop: Header=BB12_77 Depth=1
	s_or_b64 exec, exec, s[94:95]
	s_trap 2
	ds_read_b64 v[12:13], v0
	s_waitcnt lgkmcnt(0)
	v_lshl_add_u64 v[26:27], v[26:27], 0, v[34:35]
	v_cmp_lt_u64_e32 vcc, v[12:13], v[26:27]
	s_and_saveexec_b64 s[94:95], vcc
	s_cbranch_execz .LBB12_199
; %bb.172:                              ;   in Loop: Header=BB12_77 Depth=1
	s_mov_b32 s50, 0
	s_mov_b64 s[30:31], 0
                                        ; implicit-def: $sgpr34_sgpr35
                                        ; implicit-def: $sgpr36_sgpr37
	s_branch .LBB12_174
.LBB12_173:                             ;   in Loop: Header=BB12_174 Depth=2
	s_or_b64 exec, exec, s[48:49]
	s_and_b64 vcc, exec, vcc
	s_or_b64 s[30:31], vcc, s[30:31]
	s_andn2_b64 vcc, s[34:35], exec
	s_and_b64 s[34:35], s[36:37], exec
	s_or_b64 s[34:35], vcc, s[34:35]
	s_andn2_b64 exec, exec, s[30:31]
	s_cbranch_execz .LBB12_197
.LBB12_174:                             ;   Parent Loop BB12_77 Depth=1
                                        ; =>  This Inner Loop Header: Depth=2
	s_add_i32 s50, s50, 1
	s_cmpk_lg_i32 s50, 0x2710
	s_cselect_b64 s[38:39], -1, 0
	s_and_b64 vcc, exec, s[38:39]
	s_cbranch_vccz .LBB12_176
; %bb.175:                              ;   in Loop: Header=BB12_174 Depth=2
	s_mov_b64 vcc, -1
	s_or_b64 s[36:37], s[36:37], exec
	s_and_saveexec_b64 s[48:49], s[38:39]
	s_cbranch_execz .LBB12_173
	s_branch .LBB12_177
.LBB12_176:                             ;   in Loop: Header=BB12_174 Depth=2
	s_trap 2
	ds_read_b64 v[12:13], v0
	s_andn2_b64 s[38:39], s[38:39], exec
	s_mov_b32 s50, 0
	s_waitcnt vmcnt(0) lgkmcnt(0)
	flat_load_dword v2, v[12:13] sc0 sc1
	s_waitcnt vmcnt(0) lgkmcnt(0)
	buffer_inv sc0 sc1
	v_cmp_eq_u32_e32 vcc, 0, v2
	s_and_b64 vcc, vcc, exec
	s_or_b64 s[38:39], s[38:39], vcc
	s_mov_b64 vcc, -1
	s_or_b64 s[36:37], s[36:37], exec
	s_and_saveexec_b64 s[48:49], s[38:39]
	s_cbranch_execz .LBB12_173
.LBB12_177:                             ;   in Loop: Header=BB12_174 Depth=2
	s_sleep 1
	s_trap 2
	ds_read_b64 v[12:13], v0
	s_waitcnt lgkmcnt(0)
	s_andn2_b64 s[36:37], s[36:37], exec
	v_cmp_ge_u64_e32 vcc, v[12:13], v[26:27]
	s_orn2_b64 vcc, vcc, exec
	s_branch .LBB12_173
.LBB12_178:                             ;   in Loop: Header=BB12_77 Depth=1
	s_or_b64 exec, exec, s[34:35]
	s_and_saveexec_b64 vcc, s[36:37]
	s_xor_b64 vcc, exec, vcc
	s_cbranch_execz .LBB12_180
; %bb.179:                              ;   in Loop: Header=BB12_77 Depth=1
	ds_write_b32 v0, v116
	s_trap 2
.LBB12_180:                             ;   in Loop: Header=BB12_77 Depth=1
	s_or_b64 exec, exec, s[30:31]
	;;#ASMSTART
	s_wakeup
	;;#ASMEND
.LBB12_181:                             ;   in Loop: Header=BB12_77 Depth=1
	s_or_b64 exec, exec, s[44:45]
.LBB12_182:                             ;   in Loop: Header=BB12_77 Depth=1
	s_andn2_saveexec_b64 s[42:43], s[42:43]
	s_cbranch_execz .LBB12_184
; %bb.183:                              ;   in Loop: Header=BB12_77 Depth=1
	s_waitcnt lgkmcnt(0)
	s_barrier
.LBB12_184:                             ;   in Loop: Header=BB12_77 Depth=1
	s_or_b64 exec, exec, s[42:43]
.LBB12_185:                             ;   in Loop: Header=BB12_77 Depth=1
	s_or_b64 exec, exec, s[40:41]
	s_trap 2
	ds_read_b32 v10, v0
	v_and_b32_e32 v2, 0x4000, v114
	v_cmp_ne_u32_e32 vcc, 0, v2
	s_xor_b64 s[40:41], s[6:7], -1
	s_and_b64 s[42:43], s[40:41], vcc
	s_and_saveexec_b64 s[40:41], s[42:43]
	s_cbranch_execz .LBB12_292
; %bb.186:                              ;   in Loop: Header=BB12_77 Depth=1
	s_and_saveexec_b64 s[42:43], s[60:61]
	s_xor_b64 s[42:43], exec, s[42:43]
	s_cbranch_execz .LBB12_289
; %bb.187:                              ;   in Loop: Header=BB12_77 Depth=1
	s_and_saveexec_b64 s[44:45], s[16:17]
	s_cbranch_execz .LBB12_288
; %bb.188:                              ;   in Loop: Header=BB12_77 Depth=1
	s_mov_b64 s[34:35], exec
	v_mbcnt_lo_u32_b32 v2, s34, 0
	v_mbcnt_hi_u32_b32 v2, s35, v2
	v_cmp_eq_u32_e32 vcc, 0, v2
	s_waitcnt lgkmcnt(0)
	s_and_saveexec_b64 s[30:31], vcc
	s_cbranch_execz .LBB12_190
; %bb.189:                              ;   in Loop: Header=BB12_77 Depth=1
	s_bcnt1_i32_b64 vcc_lo, s[34:35]
	v_mov_b32_e32 v2, vcc_lo
	ds_add_u64 v0, v[2:3]
	s_trap 2
.LBB12_190:                             ;   in Loop: Header=BB12_77 Depth=1
	s_or_b64 exec, exec, s[30:31]
	s_trap 2
	ds_read_b64 v[12:13], v0
	s_waitcnt lgkmcnt(0)
	v_lshl_add_u64 v[26:27], v[26:27], 0, v[34:35]
	v_cmp_lt_u64_e32 vcc, v[12:13], v[26:27]
	s_and_saveexec_b64 s[30:31], vcc
	s_cbranch_execz .LBB12_287
; %bb.191:                              ;   in Loop: Header=BB12_77 Depth=1
	s_mov_b32 s52, 0
	s_mov_b64 s[34:35], 0
                                        ; implicit-def: $sgpr36_sgpr37
                                        ; implicit-def: $sgpr38_sgpr39
	s_branch .LBB12_193
.LBB12_192:                             ;   in Loop: Header=BB12_193 Depth=2
	s_or_b64 exec, exec, s[50:51]
	s_and_b64 vcc, exec, vcc
	s_or_b64 s[34:35], vcc, s[34:35]
	s_andn2_b64 vcc, s[36:37], exec
	s_and_b64 s[36:37], s[38:39], exec
	s_or_b64 s[36:37], vcc, s[36:37]
	s_andn2_b64 exec, exec, s[34:35]
	s_cbranch_execz .LBB12_285
.LBB12_193:                             ;   Parent Loop BB12_77 Depth=1
                                        ; =>  This Inner Loop Header: Depth=2
	s_add_i32 s52, s52, 1
	s_cmpk_lg_i32 s52, 0x2710
	s_cselect_b64 s[48:49], -1, 0
	s_and_b64 vcc, exec, s[48:49]
	s_cbranch_vccz .LBB12_195
; %bb.194:                              ;   in Loop: Header=BB12_193 Depth=2
	s_mov_b64 vcc, -1
	s_or_b64 s[38:39], s[38:39], exec
	s_and_saveexec_b64 s[50:51], s[48:49]
	s_cbranch_execz .LBB12_192
	s_branch .LBB12_196
.LBB12_195:                             ;   in Loop: Header=BB12_193 Depth=2
	s_trap 2
	ds_read_b64 v[12:13], v0
	s_andn2_b64 s[48:49], s[48:49], exec
	s_mov_b32 s52, 0
	s_waitcnt vmcnt(0) lgkmcnt(0)
	flat_load_dword v2, v[12:13] sc0 sc1
	s_waitcnt vmcnt(0) lgkmcnt(0)
	buffer_inv sc0 sc1
	v_cmp_eq_u32_e32 vcc, 0, v2
	s_and_b64 vcc, vcc, exec
	s_or_b64 s[48:49], s[48:49], vcc
	s_mov_b64 vcc, -1
	s_or_b64 s[38:39], s[38:39], exec
	s_and_saveexec_b64 s[50:51], s[48:49]
	s_cbranch_execz .LBB12_192
.LBB12_196:                             ;   in Loop: Header=BB12_193 Depth=2
	s_sleep 1
	s_trap 2
	ds_read_b64 v[12:13], v0
	s_waitcnt lgkmcnt(0)
	s_andn2_b64 s[38:39], s[38:39], exec
	v_cmp_ge_u64_e32 vcc, v[12:13], v[26:27]
	s_orn2_b64 vcc, vcc, exec
	s_branch .LBB12_192
.LBB12_197:                             ;   in Loop: Header=BB12_77 Depth=1
	s_or_b64 exec, exec, s[30:31]
	s_and_saveexec_b64 vcc, s[34:35]
	s_xor_b64 vcc, exec, vcc
	s_cbranch_execz .LBB12_199
; %bb.198:                              ;   in Loop: Header=BB12_77 Depth=1
	ds_write_b32 v0, v116
	s_trap 2
.LBB12_199:                             ;   in Loop: Header=BB12_77 Depth=1
	s_or_b64 exec, exec, s[94:95]
	;;#ASMSTART
	s_wakeup
	;;#ASMEND
.LBB12_200:                             ;   in Loop: Header=BB12_77 Depth=1
	s_or_b64 exec, exec, s[44:45]
.LBB12_201:                             ;   in Loop: Header=BB12_77 Depth=1
	s_andn2_saveexec_b64 s[42:43], s[42:43]
	s_cbranch_execz .LBB12_203
; %bb.202:                              ;   in Loop: Header=BB12_77 Depth=1
	s_waitcnt lgkmcnt(0)
	s_barrier
.LBB12_203:                             ;   in Loop: Header=BB12_77 Depth=1
	s_or_b64 exec, exec, s[42:43]
.LBB12_204:                             ;   in Loop: Header=BB12_77 Depth=1
	s_or_b64 exec, exec, s[40:41]
	s_trap 2
	ds_read_b64 v[86:87], v0
	s_waitcnt lgkmcnt(0)
	v_cmp_eq_u64_e32 vcc, 0, v[86:87]
	s_cbranch_vccnz .LBB12_271
; %bb.205:                              ;   in Loop: Header=BB12_77 Depth=1
	s_trap 2
	ds_read_b64 v[96:97], v0
	s_waitcnt lgkmcnt(0)
	v_cmp_eq_u64_e32 vcc, 0, v[96:97]
	s_cbranch_vccnz .LBB12_271
; %bb.206:                              ;   in Loop: Header=BB12_77 Depth=1
	s_trap 2
	ds_read_b64 v[98:99], v0
	v_cmp_eq_u32_e64 s[40:41], 0, v10
	s_waitcnt lgkmcnt(0)
	v_cmp_ne_u64_e32 vcc, 0, v[98:99]
	v_cndmask_b32_e64 v2, 0, v84, s[40:41]
	s_cbranch_vccz .LBB12_272
; %bb.207:                              ;   in Loop: Header=BB12_77 Depth=1
	s_mov_b64 s[42:43], -1
	s_and_saveexec_b64 s[40:41], s[18:19]
	s_cbranch_execz .LBB12_209
; %bb.208:                              ;   in Loop: Header=BB12_77 Depth=1
	ds_read_b32 v10, v0 offset:720
	s_waitcnt lgkmcnt(0)
	v_and_b32_e32 v10, 15, v10
	v_cmp_eq_u32_e32 vcc, 0, v10
	s_orn2_b64 s[42:43], vcc, exec
.LBB12_209:                             ;   in Loop: Header=BB12_77 Depth=1
	s_or_b64 exec, exec, s[40:41]
	s_and_saveexec_b64 s[40:41], s[20:21]
	s_cbranch_execz .LBB12_211
; %bb.210:                              ;   in Loop: Header=BB12_77 Depth=1
	ds_read_b32 v10, v0 offset:784
	s_waitcnt lgkmcnt(0)
	v_and_b32_e32 v10, 15, v10
	v_cmp_eq_u32_e32 vcc, 0, v10
	s_and_b64 s[44:45], s[42:43], vcc
	s_andn2_b64 s[42:43], s[42:43], exec
	s_and_b64 s[44:45], s[44:45], exec
	s_or_b64 s[42:43], s[42:43], s[44:45]
.LBB12_211:                             ;   in Loop: Header=BB12_77 Depth=1
	s_or_b64 exec, exec, s[40:41]
	s_xor_b64 s[42:43], s[42:43], -1
	v_cndmask_b32_e64 v10, 0, 1, s[42:43]
	s_mov_b64 s[40:41], -1
	v_mov_b32_e32 v85, 0
	v_cmp_ne_u32_e32 vcc, 0, v10
	v_mov_b32_e32 v102, v2
	v_mov_b32_e32 v103, v0
	;; [unrolled: 1-line block ×3, first 2 shown]
	s_cbranch_vccnz .LBB12_227
; %bb.212:                              ;   in Loop: Header=BB12_77 Depth=1
	v_ashrrev_i32_e32 v10, 31, v2
	v_lshrrev_b32_e32 v10, 20, v10
	v_add_u32_e32 v10, v2, v10
	v_ashrrev_i32_e32 v85, 12, v10
	v_sub_u32_e32 v112, v85, v40
	v_cmp_lt_i32_e32 vcc, 0, v112
	s_and_saveexec_b64 s[40:41], vcc
	s_cbranch_execz .LBB12_216
; %bb.213:                              ;   in Loop: Header=BB12_77 Depth=1
	v_lshl_add_u64 v[10:11], v[86:87], 0, v[80:81]
	v_lshl_add_u64 v[12:13], v[96:97], 0, v[80:81]
	;; [unrolled: 1-line block ×3, first 2 shown]
	s_mov_b64 s[42:43], 0
.LBB12_214:                             ;   Parent Loop BB12_77 Depth=1
                                        ; =>  This Inner Loop Header: Depth=2
	global_load_dwordx4 v[44:47], v[10:11], off nt
	global_load_dwordx4 v[58:61], v[10:11], off offset:1024 nt
	global_load_dwordx4 v[72:75], v[10:11], off offset:2048 nt
	global_load_dwordx4 v[76:79], v[10:11], off offset:3072 nt
	v_sub_u32_e32 v112, v112, v34
	v_cmp_gt_i32_e32 vcc, 1, v112
	v_lshl_add_u64 v[10:11], v[10:11], 0, v[48:49]
	s_or_b64 s[42:43], vcc, s[42:43]
	s_waitcnt vmcnt(0)
	global_store_dwordx4 v[12:13], v[44:47], off
	global_store_dwordx4 v[12:13], v[58:61], off offset:1024
	global_store_dwordx4 v[12:13], v[72:75], off offset:2048
	global_store_dwordx4 v[12:13], v[76:79], off offset:3072
	global_store_dwordx4 v[100:101], v[44:47], off
	global_store_dwordx4 v[100:101], v[58:61], off offset:1024
	global_store_dwordx4 v[100:101], v[72:75], off offset:2048
	;; [unrolled: 1-line block ×3, first 2 shown]
	v_lshl_add_u64 v[12:13], v[12:13], 0, v[48:49]
	v_lshl_add_u64 v[100:101], v[100:101], 0, v[48:49]
	s_andn2_b64 exec, exec, s[42:43]
	s_cbranch_execnz .LBB12_214
; %bb.215:                              ;   in Loop: Header=BB12_77 Depth=1
	s_or_b64 exec, exec, s[42:43]
.LBB12_216:                             ;   in Loop: Header=BB12_77 Depth=1
	s_or_b64 exec, exec, s[40:41]
	v_lshlrev_b32_e32 v43, 12, v85
	v_cmp_ne_u32_e32 vcc, v2, v43
	s_mov_b64 s[40:41], 0
	v_mov_b32_e32 v85, 0
                                        ; implicit-def: $vgpr102
                                        ; implicit-def: $vgpr103
                                        ; implicit-def: $vgpr10
	s_and_saveexec_b64 s[94:95], vcc
	s_cbranch_execz .LBB12_226
; %bb.217:                              ;   in Loop: Header=BB12_77 Depth=1
	v_lshlrev_b32_e32 v10, 6, v112
	v_sub_u32_e32 v10, v41, v10
	v_ashrrev_i32_e32 v12, 31, v10
	v_lshrrev_b32_e32 v12, 26, v12
	v_add_u32_e32 v12, v10, v12
	v_sub_u32_e32 v11, v2, v43
	v_ashrrev_i32_e32 v13, 6, v12
	v_and_b32_e32 v12, 0xffffffc0, v12
	v_sub_u32_e32 v44, v10, v12
	v_ashrrev_i32_e32 v12, 31, v11
	v_lshrrev_b32_e32 v12, 22, v12
	v_add_u32_e32 v12, v11, v12
	v_and_b32_e32 v45, 0xfffffc00, v12
	v_lshlrev_b32_e32 v10, 4, v44
	v_sub_u32_e32 v47, v11, v45
	v_lshl_add_u32 v10, v13, 10, v10
	v_ashrrev_i32_e32 v100, 10, v12
	v_cmp_lt_i32_e64 s[40:41], 15, v47
	v_sub_u32_e32 v85, v11, v10
	s_nop 0
	v_addc_co_u32_e64 v11, vcc, 0, v100, s[40:41]
	v_sub_u32_e32 v46, v11, v13
	v_cmp_lt_i32_e32 vcc, 15, v85
	s_and_saveexec_b64 s[30:31], vcc
	s_cbranch_execz .LBB12_223
; %bb.218:                              ;   in Loop: Header=BB12_77 Depth=1
	v_add_u32_e32 v10, v10, v43
	v_ashrrev_i32_e32 v11, 31, v10
	v_lshl_add_u64 v[100:101], v[10:11], 0, v[86:87]
	v_lshl_add_u64 v[102:103], v[10:11], 0, v[96:97]
	;; [unrolled: 1-line block ×3, first 2 shown]
	s_mov_b64 s[34:35], 0
.LBB12_219:                             ;   Parent Loop BB12_77 Depth=1
                                        ; =>  This Loop Header: Depth=2
                                        ;       Child Loop BB12_220 Depth 3
	global_load_dwordx4 v[10:13], v[100:101], off nt
	s_mov_b64 s[36:37], -1
	s_mov_b64 s[38:39], 0
	s_waitcnt vmcnt(0)
.LBB12_220:                             ;   Parent Loop BB12_77 Depth=1
                                        ;     Parent Loop BB12_219 Depth=2
                                        ; =>    This Inner Loop Header: Depth=3
	s_cmp_eq_u32 s38, 1
	s_cselect_b64 vcc, -1, 0
	v_cndmask_b32_e32 v59, v103, v113, vcc
	s_cmp_eq_u32 s38, 0
	v_cndmask_b32_e32 v58, v102, v112, vcc
	global_store_dwordx4 v[58:59], v[10:13], off
	v_lshl_add_u64 v[58:59], v[58:59], 0, s[62:63]
	s_cselect_b64 s[42:43], -1, 0
	s_and_b64 s[44:45], exec, s[36:37]
	s_mov_b64 s[38:39], 1
	s_mov_b64 s[36:37], 0
	v_cndmask_b32_e32 v113, v113, v59, vcc
	v_cndmask_b32_e32 v112, v112, v58, vcc
	v_cndmask_b32_e64 v103, v103, v59, s[42:43]
	v_cndmask_b32_e64 v102, v102, v58, s[42:43]
	s_mov_b64 vcc, s[44:45]
	s_cbranch_vccnz .LBB12_220
; %bb.221:                              ;   in Loop: Header=BB12_219 Depth=2
	v_sub_u32_e32 v85, v85, v119
	v_cmp_gt_i32_e32 vcc, 16, v85
	v_lshl_add_u64 v[102:103], v[102:103], 0, v[64:65]
	v_lshl_add_u64 v[112:113], v[112:113], 0, v[64:65]
	;; [unrolled: 1-line block ×3, first 2 shown]
	s_or_b64 s[34:35], vcc, s[34:35]
	v_sub_u32_e32 v46, v46, v34
	s_andn2_b64 exec, exec, s[34:35]
	s_cbranch_execnz .LBB12_219
; %bb.222:                              ;   in Loop: Header=BB12_77 Depth=1
	s_or_b64 exec, exec, s[34:35]
.LBB12_223:                             ;   in Loop: Header=BB12_77 Depth=1
	s_or_b64 exec, exec, s[30:31]
	v_and_b32_e32 v11, 15, v2
	v_cndmask_b32_e64 v102, v47, v11, s[40:41]
	v_mov_b32_e32 v85, 0
	v_cmp_ne_u32_e32 vcc, 0, v102
	s_mov_b64 s[42:43], 0
                                        ; implicit-def: $vgpr103
                                        ; implicit-def: $vgpr10
	s_and_saveexec_b64 s[44:45], vcc
	s_cbranch_execz .LBB12_225
; %bb.224:                              ;   in Loop: Header=BB12_77 Depth=1
	v_sub_u32_e32 v10, v47, v11
	v_cndmask_b32_e64 v10, 0, v10, s[40:41]
	v_cmp_lt_i32_e32 vcc, 0, v46
	v_add3_u32 v85, v45, v43, v10
	s_mov_b64 s[42:43], exec
	v_cndmask_b32_e32 v10, 0, v34, vcc
	v_sub_u32_e32 v10, v10, v46
	v_lshl_add_u32 v103, v10, 6, v44
	v_ashrrev_i32_e32 v10, 31, v103
	v_lshrrev_b32_e32 v10, 26, v10
	v_add_u32_e32 v10, v103, v10
	v_ashrrev_i32_e32 v10, 6, v10
.LBB12_225:                             ;   in Loop: Header=BB12_77 Depth=1
	s_or_b64 exec, exec, s[44:45]
	s_and_b64 s[40:41], s[42:43], exec
.LBB12_226:                             ;   in Loop: Header=BB12_77 Depth=1
	s_or_b64 exec, exec, s[94:95]
.LBB12_227:                             ;   in Loop: Header=BB12_77 Depth=1
	s_and_saveexec_b64 s[44:45], s[40:41]
	s_cbranch_execz .LBB12_238
; %bb.228:                              ;   in Loop: Header=BB12_77 Depth=1
	v_ashrrev_i32_e32 v11, 31, v102
	v_lshrrev_b32_e32 v11, 21, v11
	v_add_u32_e32 v11, v102, v11
	v_ashrrev_i32_e32 v43, 11, v11
	v_sub_u32_e32 v112, v43, v10
	v_cmp_lt_i32_e32 vcc, 0, v112
	v_ashrrev_i32_e32 v113, 31, v103
	s_and_saveexec_b64 s[40:41], vcc
	s_cbranch_execz .LBB12_232
; %bb.229:                              ;   in Loop: Header=BB12_77 Depth=1
	v_lshrrev_b32_e32 v11, 26, v113
	v_add_u32_e32 v11, v103, v11
	v_and_b32_e32 v11, 0xffffffc0, v11
	v_sub_u32_e32 v11, v103, v11
	v_lshlrev_b32_e32 v10, 11, v10
	v_add3_u32 v100, v85, v11, v10
	v_ashrrev_i32_e32 v101, 31, v100
	v_lshl_add_u64 v[12:13], v[100:101], 0, v[98:99]
	v_lshl_add_u64 v[98:99], v[86:87], 0, s[74:75]
	;; [unrolled: 1-line block ×4, first 2 shown]
	s_mov_b64 s[42:43], 0
.LBB12_230:                             ;   Parent Loop BB12_77 Depth=1
                                        ; =>  This Inner Loop Header: Depth=2
	v_add_co_u32_e32 v100, vcc, 0xfffff840, v98
	flat_load_ubyte v44, v[98:99] nt
	s_nop 0
	v_addc_co_u32_e32 v101, vcc, -1, v99, vcc
	v_add_co_u32_e32 v46, vcc, 0xfffff880, v98
	flat_load_ubyte v45, v[100:101] nt
	s_nop 0
	v_addc_co_u32_e32 v47, vcc, -1, v99, vcc
	;; [unrolled: 4-line block ×31, first 2 shown]
	flat_load_ubyte v100, v[100:101] nt
	v_sub_u32_e32 v112, v112, v34
	v_cmp_gt_i32_e32 vcc, 1, v112
	s_or_b64 s[42:43], vcc, s[42:43]
	v_lshl_add_u64 v[98:99], v[98:99], 0, v[50:51]
	s_waitcnt vmcnt(0) lgkmcnt(0)
	flat_store_byte v[10:11], v44 offset:1984 nt
	flat_store_byte v[10:11], v45 nt
	flat_store_byte v[10:11], v58 offset:64 nt
	flat_store_byte v[10:11], v59 offset:128 nt
	;; [unrolled: 1-line block ×30, first 2 shown]
	flat_store_byte v[12:13], v45 nt
	flat_store_byte v[12:13], v58 offset:64 nt
	flat_store_byte v[12:13], v59 offset:128 nt
	flat_store_byte v[12:13], v60 offset:192 nt
	flat_store_byte v[12:13], v61 offset:256 nt
	flat_store_byte v[12:13], v62 offset:320 nt
	flat_store_byte v[12:13], v63 offset:384 nt
	flat_store_byte v[12:13], v72 offset:448 nt
	flat_store_byte v[12:13], v73 offset:512 nt
	flat_store_byte v[12:13], v74 offset:576 nt
	flat_store_byte v[12:13], v75 offset:640 nt
	flat_store_byte v[12:13], v76 offset:704 nt
	flat_store_byte v[12:13], v77 offset:768 nt
	flat_store_byte v[12:13], v78 offset:832 nt
	flat_store_byte v[12:13], v79 offset:896 nt
	flat_store_byte v[12:13], v88 offset:960 nt
	flat_store_byte v[12:13], v89 offset:1024 nt
	flat_store_byte v[12:13], v90 offset:1088 nt
	flat_store_byte v[12:13], v91 offset:1152 nt
	flat_store_byte v[12:13], v92 offset:1216 nt
	flat_store_byte v[12:13], v93 offset:1280 nt
	flat_store_byte v[12:13], v94 offset:1344 nt
	flat_store_byte v[12:13], v95 offset:1408 nt
	flat_store_byte v[12:13], v104 offset:1472 nt
	flat_store_byte v[12:13], v105 offset:1536 nt
	flat_store_byte v[12:13], v106 offset:1600 nt
	flat_store_byte v[12:13], v107 offset:1664 nt
	flat_store_byte v[12:13], v108 offset:1728 nt
	flat_store_byte v[12:13], v109 offset:1792 nt
	flat_store_byte v[12:13], v46 offset:1856 nt
	flat_store_byte v[12:13], v100 offset:1920 nt
	flat_store_byte v[12:13], v44 offset:1984 nt
	v_lshl_add_u64 v[10:11], v[10:11], 0, v[50:51]
	v_lshl_add_u64 v[12:13], v[12:13], 0, v[50:51]
	s_andn2_b64 exec, exec, s[42:43]
	s_cbranch_execnz .LBB12_230
; %bb.231:                              ;   in Loop: Header=BB12_77 Depth=1
	s_or_b64 exec, exec, s[42:43]
.LBB12_232:                             ;   in Loop: Header=BB12_77 Depth=1
	s_or_b64 exec, exec, s[40:41]
	v_lshlrev_b32_e32 v10, 11, v43
	v_cmp_ne_u32_e32 vcc, v102, v10
	s_and_b64 exec, exec, vcc
	s_cbranch_execz .LBB12_238
; %bb.233:                              ;   in Loop: Header=BB12_77 Depth=1
	v_lshrrev_b32_e32 v11, 26, v113
	v_add_u32_e32 v11, v103, v11
	v_and_b32_e32 v11, 0xffffffc0, v11
	v_sub_u32_e32 v11, v103, v11
	v_lshlrev_b32_e32 v12, 6, v112
	v_sub_u32_e32 v11, v11, v12
	v_add_u32_e32 v10, v10, v11
	v_sub_u32_e32 v100, v102, v10
	v_cmp_lt_i32_e32 vcc, 0, v100
	s_and_b64 exec, exec, vcc
	s_cbranch_execz .LBB12_238
; %bb.234:                              ;   in Loop: Header=BB12_77 Depth=1
	s_trap 2
	ds_read_b64 v[12:13], v0
	ds_read_b128 v[44:47], v0
	v_add_u32_e32 v98, v10, v85
	v_ashrrev_i32_e32 v99, 31, v98
	s_mov_b64 s[94:95], 0
	s_waitcnt lgkmcnt(0)
	v_lshl_add_u64 v[10:11], v[12:13], 0, v[98:99]
	v_lshl_add_u64 v[12:13], v[44:45], 0, v[98:99]
	;; [unrolled: 1-line block ×3, first 2 shown]
.LBB12_235:                             ;   Parent Loop BB12_77 Depth=1
                                        ; =>  This Loop Header: Depth=2
                                        ;       Child Loop BB12_236 Depth 3
	flat_load_ubyte v85, v[10:11] nt
	s_mov_b64 s[30:31], -1
	s_mov_b64 s[34:35], 0
	s_waitcnt vmcnt(0)
.LBB12_236:                             ;   Parent Loop BB12_77 Depth=1
                                        ;     Parent Loop BB12_235 Depth=2
                                        ; =>    This Inner Loop Header: Depth=3
	s_cmp_eq_u32 s34, 1
	s_cselect_b64 vcc, -1, 0
	v_cndmask_b32_e32 v103, v13, v99, vcc
	s_cmp_eq_u32 s34, 0
	v_cndmask_b32_e32 v102, v12, v98, vcc
	s_waitcnt lgkmcnt(0)
	flat_store_byte v[102:103], v85 nt
	v_lshl_add_u64 v[102:103], v[102:103], 0, 64
	s_cselect_b64 s[40:41], -1, 0
	s_and_b64 s[42:43], exec, s[30:31]
	s_mov_b64 s[34:35], 1
	s_mov_b64 s[30:31], 0
	v_cndmask_b32_e32 v99, v99, v103, vcc
	v_cndmask_b32_e32 v98, v98, v102, vcc
	v_cndmask_b32_e64 v13, v13, v103, s[40:41]
	v_cndmask_b32_e64 v12, v12, v102, s[40:41]
	s_mov_b64 vcc, s[42:43]
	s_cbranch_vccnz .LBB12_236
; %bb.237:                              ;   in Loop: Header=BB12_235 Depth=2
	v_sub_u32_e32 v100, v100, v115
	v_cmp_gt_i32_e32 vcc, 1, v100
	v_lshl_add_u64 v[12:13], v[12:13], 0, v[52:53]
	v_lshl_add_u64 v[98:99], v[98:99], 0, v[52:53]
	s_or_b64 s[94:95], vcc, s[94:95]
	v_lshl_add_u64 v[10:11], v[68:69], 0, v[10:11]
	s_andn2_b64 exec, exec, s[94:95]
	s_cbranch_execnz .LBB12_235
.LBB12_238:                             ;   in Loop: Header=BB12_77 Depth=1
	s_or_b64 exec, exec, s[44:45]
	s_branch .LBB12_273
.LBB12_239:                             ;   in Loop: Header=BB12_77 Depth=1
	s_mov_b64 s[40:41], -1
	s_and_saveexec_b64 s[42:43], s[18:19]
	s_cbranch_execz .LBB12_241
; %bb.240:                              ;   in Loop: Header=BB12_77 Depth=1
	ds_read_b32 v10, v0 offset:720
	s_waitcnt lgkmcnt(0)
	v_and_b32_e32 v10, 15, v10
	v_cmp_eq_u32_e32 vcc, 0, v10
	s_orn2_b64 s[40:41], vcc, exec
.LBB12_241:                             ;   in Loop: Header=BB12_77 Depth=1
	s_or_b64 exec, exec, s[42:43]
	s_and_saveexec_b64 s[42:43], s[22:23]
	s_cbranch_execz .LBB12_243
; %bb.242:                              ;   in Loop: Header=BB12_77 Depth=1
	ds_read_b32 v10, v0 offset:784
	s_waitcnt lgkmcnt(0)
	v_and_b32_e32 v10, 15, v10
	v_cmp_eq_u32_e32 vcc, 0, v10
	s_and_b64 s[44:45], s[40:41], vcc
	s_andn2_b64 s[40:41], s[40:41], exec
	s_and_b64 s[44:45], s[44:45], exec
	s_or_b64 s[40:41], s[40:41], s[44:45]
.LBB12_243:                             ;   in Loop: Header=BB12_77 Depth=1
	s_or_b64 exec, exec, s[42:43]
	s_xor_b64 s[40:41], s[40:41], -1
	v_cndmask_b32_e64 v10, 0, 1, s[40:41]
	s_mov_b64 s[44:45], -1
	v_mov_b32_e32 v12, 0
	v_cmp_ne_u32_e32 vcc, 0, v10
	v_mov_b32_e32 v13, v2
	v_mov_b32_e32 v85, v0
	;; [unrolled: 1-line block ×3, first 2 shown]
	s_cbranch_vccnz .LBB12_257
; %bb.244:                              ;   in Loop: Header=BB12_77 Depth=1
	v_ashrrev_i32_e32 v10, 31, v2
	v_lshrrev_b32_e32 v10, 19, v10
	v_add_u32_e32 v10, v2, v10
	v_ashrrev_i32_e32 v85, 13, v10
	v_sub_u32_e32 v99, v85, v40
	v_cmp_lt_i32_e32 vcc, 0, v99
	s_and_saveexec_b64 s[42:43], vcc
	s_cbranch_execz .LBB12_248
; %bb.245:                              ;   in Loop: Header=BB12_77 Depth=1
	s_mov_b64 s[44:45], 0
	v_mov_b64_e32 v[10:11], v[96:97]
	v_mov_b64_e32 v[12:13], v[86:87]
.LBB12_246:                             ;   Parent Loop BB12_77 Depth=1
                                        ; =>  This Inner Loop Header: Depth=2
	v_lshl_add_u64 v[112:113], v[82:83], 0, v[12:13]
	global_load_dwordx4 v[100:103], v[112:113], off nt
	global_load_dwordx4 v[44:47], v[112:113], off offset:1024 nt
	global_load_dwordx4 v[58:61], v[112:113], off offset:2048 nt
	;; [unrolled: 1-line block ×3, first 2 shown]
	v_add_co_u32_e32 v112, vcc, 0x1000, v112
	v_sub_u32_e32 v99, v99, v34
	s_nop 0
	v_addc_co_u32_e32 v113, vcc, 0, v113, vcc
	global_load_dwordx4 v[76:79], v[112:113], off nt
	global_load_dwordx4 v[88:91], v[112:113], off offset:1024 nt
	global_load_dwordx4 v[92:95], v[112:113], off offset:2048 nt
	;; [unrolled: 1-line block ×3, first 2 shown]
	v_lshl_add_u64 v[112:113], v[82:83], 0, v[10:11]
	v_cmp_gt_i32_e64 s[40:41], 1, v99
	v_lshl_add_u64 v[12:13], v[12:13], 0, v[54:55]
	v_lshl_add_u64 v[10:11], v[10:11], 0, v[54:55]
	v_add_co_u32_e32 v62, vcc, 0x1000, v112
	s_or_b64 s[44:45], s[40:41], s[44:45]
	s_nop 0
	v_addc_co_u32_e32 v63, vcc, 0, v113, vcc
	s_waitcnt vmcnt(0)
	global_store_dwordx4 v[112:113], v[100:103], off
	global_store_dwordx4 v[112:113], v[44:47], off offset:1024
	global_store_dwordx4 v[112:113], v[58:61], off offset:2048
	;; [unrolled: 1-line block ×3, first 2 shown]
	global_store_dwordx4 v[62:63], v[76:79], off
	global_store_dwordx4 v[62:63], v[88:91], off offset:1024
	global_store_dwordx4 v[62:63], v[92:95], off offset:2048
	;; [unrolled: 1-line block ×3, first 2 shown]
	s_andn2_b64 exec, exec, s[44:45]
	s_cbranch_execnz .LBB12_246
; %bb.247:                              ;   in Loop: Header=BB12_77 Depth=1
	s_or_b64 exec, exec, s[44:45]
.LBB12_248:                             ;   in Loop: Header=BB12_77 Depth=1
	s_or_b64 exec, exec, s[42:43]
	v_lshlrev_b32_e32 v98, 13, v85
	v_cmp_ne_u32_e32 vcc, v2, v98
	s_mov_b64 s[44:45], 0
	v_mov_b32_e32 v12, 0
                                        ; implicit-def: $vgpr13
                                        ; implicit-def: $vgpr85
                                        ; implicit-def: $vgpr10
	s_and_saveexec_b64 s[42:43], vcc
	s_cbranch_execz .LBB12_256
; %bb.249:                              ;   in Loop: Header=BB12_77 Depth=1
	v_lshlrev_b32_e32 v10, 6, v99
	v_sub_u32_e32 v10, v41, v10
	v_sub_u32_e32 v11, v2, v98
	v_ashrrev_i32_e32 v12, 31, v10
	v_lshrrev_b32_e32 v12, 26, v12
	v_ashrrev_i32_e32 v85, 31, v11
	v_add_u32_e32 v12, v10, v12
	v_lshrrev_b32_e32 v85, 22, v85
	v_ashrrev_i32_e32 v13, 6, v12
	v_and_b32_e32 v12, 0xffffffc0, v12
	v_add_u32_e32 v85, v11, v85
	v_sub_u32_e32 v99, v10, v12
	v_and_b32_e32 v100, 0xfffffc00, v85
	v_lshlrev_b32_e32 v10, 4, v99
	v_sub_u32_e32 v102, v11, v100
	v_lshl_add_u32 v10, v13, 10, v10
	v_ashrrev_i32_e32 v101, 10, v85
	v_cmp_lt_i32_e32 vcc, 15, v102
	v_sub_u32_e32 v12, v11, v10
	s_nop 0
	v_addc_co_u32_e64 v11, s[40:41], 0, v101, vcc
	v_sub_u32_e32 v101, v11, v13
	v_cmp_lt_i32_e64 s[40:41], 15, v12
	s_and_saveexec_b64 s[44:45], s[40:41]
	s_cbranch_execz .LBB12_253
; %bb.250:                              ;   in Loop: Header=BB12_77 Depth=1
	v_add_u32_e32 v10, v10, v98
	v_ashrrev_i32_e32 v11, 31, v10
	s_mov_b64 s[94:95], 0
.LBB12_251:                             ;   Parent Loop BB12_77 Depth=1
                                        ; =>  This Inner Loop Header: Depth=2
	v_lshl_add_u64 v[112:113], v[86:87], 0, v[10:11]
	global_load_dwordx4 v[44:47], v[112:113], off nt
	v_sub_u32_e32 v12, v12, v119
	v_cmp_gt_i32_e64 s[40:41], 16, v12
	v_lshl_add_u64 v[112:113], v[96:97], 0, v[10:11]
	v_sub_u32_e32 v101, v101, v34
	v_lshl_add_u64 v[10:11], v[10:11], 0, v[70:71]
	s_or_b64 s[94:95], s[40:41], s[94:95]
	s_waitcnt vmcnt(0)
	global_store_dwordx4 v[112:113], v[44:47], off
	s_andn2_b64 exec, exec, s[94:95]
	s_cbranch_execnz .LBB12_251
; %bb.252:                              ;   in Loop: Header=BB12_77 Depth=1
	s_or_b64 exec, exec, s[94:95]
.LBB12_253:                             ;   in Loop: Header=BB12_77 Depth=1
	s_or_b64 exec, exec, s[44:45]
	v_and_b32_e32 v11, 15, v2
	v_cndmask_b32_e32 v13, v102, v11, vcc
	v_mov_b32_e32 v12, 0
	v_cmp_ne_u32_e64 s[40:41], 0, v13
	s_mov_b64 s[44:45], 0
                                        ; implicit-def: $vgpr85
                                        ; implicit-def: $vgpr10
	s_and_saveexec_b64 s[94:95], s[40:41]
	s_cbranch_execz .LBB12_255
; %bb.254:                              ;   in Loop: Header=BB12_77 Depth=1
	v_sub_u32_e32 v10, v102, v11
	v_cndmask_b32_e32 v10, 0, v10, vcc
	v_cmp_lt_i32_e32 vcc, 0, v101
	v_add3_u32 v12, v100, v98, v10
	s_mov_b64 s[44:45], exec
	v_cndmask_b32_e32 v10, 0, v34, vcc
	v_sub_u32_e32 v10, v10, v101
	v_lshl_add_u32 v85, v10, 6, v99
	v_ashrrev_i32_e32 v10, 31, v85
	v_lshrrev_b32_e32 v10, 26, v10
	v_add_u32_e32 v10, v85, v10
	v_ashrrev_i32_e32 v10, 6, v10
.LBB12_255:                             ;   in Loop: Header=BB12_77 Depth=1
	s_or_b64 exec, exec, s[94:95]
	s_and_b64 s[44:45], s[44:45], exec
.LBB12_256:                             ;   in Loop: Header=BB12_77 Depth=1
	s_or_b64 exec, exec, s[42:43]
.LBB12_257:                             ;   in Loop: Header=BB12_77 Depth=1
	s_and_saveexec_b64 s[40:41], s[44:45]
	s_cbranch_execz .LBB12_266
; %bb.258:                              ;   in Loop: Header=BB12_77 Depth=1
	v_ashrrev_i32_e32 v11, 31, v13
	v_lshrrev_b32_e32 v11, 21, v11
	v_add_u32_e32 v11, v13, v11
	v_ashrrev_i32_e32 v99, 11, v11
	v_sub_u32_e32 v98, v99, v10
	v_cmp_lt_i32_e32 vcc, 0, v98
	s_and_saveexec_b64 s[42:43], vcc
	s_cbranch_execz .LBB12_262
; %bb.259:                              ;   in Loop: Header=BB12_77 Depth=1
	v_ashrrev_i32_e32 v11, 31, v85
	v_lshrrev_b32_e32 v11, 26, v11
	v_add_u32_e32 v11, v85, v11
	v_and_b32_e32 v11, 0xffffffc0, v11
	v_sub_u32_e32 v11, v85, v11
	v_lshlrev_b32_e32 v10, 11, v10
	v_add3_u32 v10, v12, v11, v10
	v_ashrrev_i32_e32 v11, 31, v10
	s_mov_b64 s[44:45], 0
.LBB12_260:                             ;   Parent Loop BB12_77 Depth=1
                                        ; =>  This Inner Loop Header: Depth=2
	v_lshl_add_u64 v[100:101], v[10:11], 0, v[86:87]
	flat_load_ubyte v102, v[100:101] nt
	flat_load_ubyte v103, v[100:101] offset:64 nt
	flat_load_ubyte v112, v[100:101] offset:128 nt
	;; [unrolled: 1-line block ×31, first 2 shown]
	v_sub_u32_e32 v98, v98, v34
	v_cmp_gt_i32_e32 vcc, 1, v98
	v_lshl_add_u64 v[100:101], v[10:11], 0, v[96:97]
	v_lshl_add_u64 v[86:87], v[86:87], 0, v[50:51]
	v_lshl_add_u64 v[96:97], v[96:97], 0, v[50:51]
	s_or_b64 s[44:45], vcc, s[44:45]
	s_waitcnt vmcnt(0) lgkmcnt(0)
	flat_store_byte v[100:101], v102 nt
	flat_store_byte v[100:101], v103 offset:64 nt
	flat_store_byte v[100:101], v112 offset:128 nt
	;; [unrolled: 1-line block ×31, first 2 shown]
	s_andn2_b64 exec, exec, s[44:45]
	s_cbranch_execnz .LBB12_260
; %bb.261:                              ;   in Loop: Header=BB12_77 Depth=1
	s_or_b64 exec, exec, s[44:45]
.LBB12_262:                             ;   in Loop: Header=BB12_77 Depth=1
	s_or_b64 exec, exec, s[42:43]
	v_lshlrev_b32_e32 v10, 11, v99
	v_cmp_ne_u32_e32 vcc, v13, v10
	s_and_b64 exec, exec, vcc
	s_cbranch_execz .LBB12_266
; %bb.263:                              ;   in Loop: Header=BB12_77 Depth=1
	v_ashrrev_i32_e32 v11, 31, v85
	v_lshrrev_b32_e32 v11, 26, v11
	v_add_u32_e32 v11, v85, v11
	v_and_b32_e32 v11, 0xffffffc0, v11
	v_sub_u32_e32 v11, v85, v11
	v_lshlrev_b32_e32 v85, 6, v98
	v_sub_u32_e32 v11, v11, v85
	v_add_u32_e32 v86, v10, v11
	v_sub_u32_e32 v85, v13, v86
	v_cmp_lt_i32_e32 vcc, 0, v85
	s_and_b64 exec, exec, vcc
	s_cbranch_execz .LBB12_266
; %bb.264:                              ;   in Loop: Header=BB12_77 Depth=1
	s_trap 2
	ds_read_b64 v[10:11], v0
	v_add_u32_e32 v12, v86, v12
	v_ashrrev_i32_e32 v13, 31, v12
	s_mov_b64 s[42:43], 0
.LBB12_265:                             ;   Parent Loop BB12_77 Depth=1
                                        ; =>  This Inner Loop Header: Depth=2
	s_waitcnt lgkmcnt(0)
	v_lshl_add_u64 v[86:87], v[10:11], 0, v[12:13]
	flat_load_ubyte v96, v[86:87] nt
	v_sub_u32_e32 v85, v85, v115
	v_cmp_gt_i32_e32 vcc, 1, v85
	v_lshl_add_u64 v[12:13], v[12:13], 0, v[68:69]
	s_or_b64 s[42:43], vcc, s[42:43]
	s_waitcnt vmcnt(0) lgkmcnt(0)
	flat_store_byte v[86:87], v96 nt
	s_andn2_b64 exec, exec, s[42:43]
	s_cbranch_execnz .LBB12_265
.LBB12_266:                             ;   in Loop: Header=BB12_77 Depth=1
	s_or_b64 exec, exec, s[40:41]
	v_cmp_lt_i32_e64 s[40:41], 0, v2
	s_and_saveexec_b64 s[42:43], s[10:11]
	s_cbranch_execnz .LBB12_274
.LBB12_267:                             ;   in Loop: Header=BB12_77 Depth=1
	s_or_b64 exec, exec, s[42:43]
                                        ; implicit-def: $vgpr2
	s_and_saveexec_b64 s[42:43], s[24:25]
	s_xor_b64 s[42:43], exec, s[42:43]
	s_cbranch_execz .LBB12_381
.LBB12_268:                             ;   in Loop: Header=BB12_77 Depth=1
	v_and_b32_e32 v10, 16, v114
	v_cmp_ne_u32_e32 vcc, 0, v10
	v_and_b32_e32 v2, 16, v114
	s_and_b64 s[44:45], vcc, s[40:41]
	s_and_saveexec_b64 s[40:41], s[44:45]
	s_cbranch_execz .LBB12_270
; %bb.269:                              ;   in Loop: Header=BB12_77 Depth=1
	v_mov_b32_e32 v2, 1
	buffer_wbl2 sc1
	s_waitcnt vmcnt(0) lgkmcnt(0)
	buffer_inv sc1
.LBB12_270:                             ;   in Loop: Header=BB12_77 Depth=1
	s_or_b64 exec, exec, s[40:41]
	s_andn2_saveexec_b64 s[40:41], s[42:43]
	s_cbranch_execz .LBB12_419
	s_branch .LBB12_382
.LBB12_271:                             ;   in Loop: Header=BB12_77 Depth=1
	s_mov_b64 s[40:41], 0
	s_and_saveexec_b64 s[42:43], s[10:11]
	s_cbranch_execnz .LBB12_274
	s_branch .LBB12_267
.LBB12_272:                             ;   in Loop: Header=BB12_77 Depth=1
	s_cbranch_execnz .LBB12_239
.LBB12_273:                             ;   in Loop: Header=BB12_77 Depth=1
	v_cmp_lt_i32_e64 s[40:41], 0, v2
	s_and_saveexec_b64 s[42:43], s[10:11]
	s_cbranch_execz .LBB12_267
.LBB12_274:                             ;   in Loop: Header=BB12_77 Depth=1
	s_and_saveexec_b64 s[44:45], s[60:61]
	s_xor_b64 s[44:45], exec, s[44:45]
	s_cbranch_execz .LBB12_378
; %bb.275:                              ;   in Loop: Header=BB12_77 Depth=1
	s_and_saveexec_b64 s[94:95], s[16:17]
	s_cbranch_execz .LBB12_377
; %bb.276:                              ;   in Loop: Header=BB12_77 Depth=1
	s_mov_b64 s[34:35], exec
	v_mbcnt_lo_u32_b32 v2, s34, 0
	v_mbcnt_hi_u32_b32 v2, s35, v2
	v_cmp_eq_u32_e32 vcc, 0, v2
	s_waitcnt lgkmcnt(0)
	s_and_saveexec_b64 s[30:31], vcc
	s_cbranch_execz .LBB12_278
; %bb.277:                              ;   in Loop: Header=BB12_77 Depth=1
	s_bcnt1_i32_b64 vcc_lo, s[34:35]
	v_mov_b32_e32 v2, vcc_lo
	ds_add_u64 v0, v[2:3]
	s_trap 2
.LBB12_278:                             ;   in Loop: Header=BB12_77 Depth=1
	s_or_b64 exec, exec, s[30:31]
	s_trap 2
	ds_read_b64 v[10:11], v0
	s_waitcnt lgkmcnt(0)
	v_lshl_add_u64 v[26:27], v[26:27], 0, v[34:35]
	v_cmp_lt_u64_e32 vcc, v[10:11], v[26:27]
	s_and_saveexec_b64 s[30:31], vcc
	s_cbranch_execz .LBB12_376
; %bb.279:                              ;   in Loop: Header=BB12_77 Depth=1
	s_mov_b32 s52, 0
	s_mov_b64 s[34:35], 0
                                        ; implicit-def: $sgpr36_sgpr37
                                        ; implicit-def: $sgpr38_sgpr39
	s_branch .LBB12_281
.LBB12_280:                             ;   in Loop: Header=BB12_281 Depth=2
	s_or_b64 exec, exec, s[50:51]
	s_and_b64 vcc, exec, vcc
	s_or_b64 s[34:35], vcc, s[34:35]
	s_andn2_b64 vcc, s[36:37], exec
	s_and_b64 s[36:37], s[38:39], exec
	s_or_b64 s[36:37], vcc, s[36:37]
	s_andn2_b64 exec, exec, s[34:35]
	s_cbranch_execz .LBB12_374
.LBB12_281:                             ;   Parent Loop BB12_77 Depth=1
                                        ; =>  This Inner Loop Header: Depth=2
	s_add_i32 s52, s52, 1
	s_cmpk_lg_i32 s52, 0x2710
	s_cselect_b64 s[48:49], -1, 0
	s_and_b64 vcc, exec, s[48:49]
	s_cbranch_vccz .LBB12_283
; %bb.282:                              ;   in Loop: Header=BB12_281 Depth=2
	s_mov_b64 vcc, -1
	s_or_b64 s[38:39], s[38:39], exec
	s_and_saveexec_b64 s[50:51], s[48:49]
	s_cbranch_execz .LBB12_280
	s_branch .LBB12_284
.LBB12_283:                             ;   in Loop: Header=BB12_281 Depth=2
	s_trap 2
	ds_read_b64 v[10:11], v0
	s_andn2_b64 s[48:49], s[48:49], exec
	s_mov_b32 s52, 0
	s_waitcnt vmcnt(0) lgkmcnt(0)
	flat_load_dword v2, v[10:11] sc0 sc1
	s_waitcnt vmcnt(0) lgkmcnt(0)
	buffer_inv sc0 sc1
	v_cmp_eq_u32_e32 vcc, 0, v2
	s_and_b64 vcc, vcc, exec
	s_or_b64 s[48:49], s[48:49], vcc
	s_mov_b64 vcc, -1
	s_or_b64 s[38:39], s[38:39], exec
	s_and_saveexec_b64 s[50:51], s[48:49]
	s_cbranch_execz .LBB12_280
.LBB12_284:                             ;   in Loop: Header=BB12_281 Depth=2
	s_sleep 1
	s_trap 2
	ds_read_b64 v[10:11], v0
	s_waitcnt lgkmcnt(0)
	s_andn2_b64 s[38:39], s[38:39], exec
	v_cmp_ge_u64_e32 vcc, v[10:11], v[26:27]
	s_orn2_b64 vcc, vcc, exec
	s_branch .LBB12_280
.LBB12_285:                             ;   in Loop: Header=BB12_77 Depth=1
	s_or_b64 exec, exec, s[34:35]
	s_and_saveexec_b64 vcc, s[36:37]
	s_xor_b64 vcc, exec, vcc
	s_cbranch_execz .LBB12_287
; %bb.286:                              ;   in Loop: Header=BB12_77 Depth=1
	ds_write_b32 v0, v116
	s_trap 2
.LBB12_287:                             ;   in Loop: Header=BB12_77 Depth=1
	s_or_b64 exec, exec, s[30:31]
	;;#ASMSTART
	s_wakeup
	;;#ASMEND
.LBB12_288:                             ;   in Loop: Header=BB12_77 Depth=1
	s_or_b64 exec, exec, s[44:45]
.LBB12_289:                             ;   in Loop: Header=BB12_77 Depth=1
	s_andn2_saveexec_b64 s[42:43], s[42:43]
	s_cbranch_execz .LBB12_291
; %bb.290:                              ;   in Loop: Header=BB12_77 Depth=1
	s_waitcnt lgkmcnt(0)
	s_barrier
.LBB12_291:                             ;   in Loop: Header=BB12_77 Depth=1
	s_or_b64 exec, exec, s[42:43]
.LBB12_292:                             ;   in Loop: Header=BB12_77 Depth=1
	s_or_b64 exec, exec, s[40:41]
	s_trap 2
	ds_read_b64 v[86:87], v0
	s_waitcnt lgkmcnt(0)
	v_cmp_eq_u64_e32 vcc, 0, v[86:87]
	s_cbranch_vccnz .LBB12_360
; %bb.293:                              ;   in Loop: Header=BB12_77 Depth=1
	s_trap 2
	ds_read_b64 v[96:97], v0
	s_waitcnt lgkmcnt(0)
	v_cmp_eq_u64_e32 vcc, 0, v[96:97]
	s_cbranch_vccnz .LBB12_360
; %bb.294:                              ;   in Loop: Header=BB12_77 Depth=1
	s_trap 2
	ds_read_b64 v[98:99], v0
	v_cmp_eq_u32_e64 s[40:41], 0, v10
	s_waitcnt lgkmcnt(0)
	v_cmp_ne_u64_e32 vcc, 0, v[98:99]
	v_cndmask_b32_e64 v2, 0, v84, s[40:41]
	s_cbranch_vccz .LBB12_361
; %bb.295:                              ;   in Loop: Header=BB12_77 Depth=1
	s_mov_b64 s[42:43], -1
	s_and_saveexec_b64 s[40:41], s[22:23]
	s_cbranch_execz .LBB12_297
; %bb.296:                              ;   in Loop: Header=BB12_77 Depth=1
	ds_read_b32 v10, v0 offset:720
	s_waitcnt lgkmcnt(0)
	v_and_b32_e32 v10, 15, v10
	v_cmp_eq_u32_e32 vcc, 0, v10
	s_orn2_b64 s[42:43], vcc, exec
.LBB12_297:                             ;   in Loop: Header=BB12_77 Depth=1
	s_or_b64 exec, exec, s[40:41]
	s_and_saveexec_b64 s[40:41], s[20:21]
	s_cbranch_execz .LBB12_299
; %bb.298:                              ;   in Loop: Header=BB12_77 Depth=1
	ds_read_b32 v10, v0 offset:784
	s_waitcnt lgkmcnt(0)
	v_and_b32_e32 v10, 15, v10
	v_cmp_eq_u32_e32 vcc, 0, v10
	s_and_b64 s[44:45], s[42:43], vcc
	s_andn2_b64 s[42:43], s[42:43], exec
	s_and_b64 s[44:45], s[44:45], exec
	s_or_b64 s[42:43], s[42:43], s[44:45]
.LBB12_299:                             ;   in Loop: Header=BB12_77 Depth=1
	s_or_b64 exec, exec, s[40:41]
	s_xor_b64 s[42:43], s[42:43], -1
	v_cndmask_b32_e64 v10, 0, 1, s[42:43]
	s_mov_b64 s[40:41], -1
	v_mov_b32_e32 v85, 0
	v_cmp_ne_u32_e32 vcc, 0, v10
	v_mov_b32_e32 v102, v2
	v_mov_b32_e32 v103, v0
	;; [unrolled: 1-line block ×3, first 2 shown]
	s_cbranch_vccnz .LBB12_315
; %bb.300:                              ;   in Loop: Header=BB12_77 Depth=1
	v_ashrrev_i32_e32 v10, 31, v2
	v_lshrrev_b32_e32 v10, 20, v10
	v_add_u32_e32 v10, v2, v10
	v_ashrrev_i32_e32 v85, 12, v10
	v_sub_u32_e32 v112, v85, v40
	v_cmp_lt_i32_e32 vcc, 0, v112
	s_and_saveexec_b64 s[40:41], vcc
	s_cbranch_execz .LBB12_304
; %bb.301:                              ;   in Loop: Header=BB12_77 Depth=1
	v_lshl_add_u64 v[10:11], v[86:87], 0, v[80:81]
	v_lshl_add_u64 v[12:13], v[96:97], 0, v[80:81]
	;; [unrolled: 1-line block ×3, first 2 shown]
	s_mov_b64 s[42:43], 0
.LBB12_302:                             ;   Parent Loop BB12_77 Depth=1
                                        ; =>  This Inner Loop Header: Depth=2
	global_load_dwordx4 v[44:47], v[10:11], off nt
	global_load_dwordx4 v[58:61], v[10:11], off offset:1024 nt
	global_load_dwordx4 v[72:75], v[10:11], off offset:2048 nt
	;; [unrolled: 1-line block ×3, first 2 shown]
	v_sub_u32_e32 v112, v112, v34
	v_cmp_gt_i32_e32 vcc, 1, v112
	v_lshl_add_u64 v[10:11], v[10:11], 0, v[48:49]
	s_or_b64 s[42:43], vcc, s[42:43]
	s_waitcnt vmcnt(0)
	global_store_dwordx4 v[12:13], v[44:47], off
	global_store_dwordx4 v[12:13], v[58:61], off offset:1024
	global_store_dwordx4 v[12:13], v[72:75], off offset:2048
	global_store_dwordx4 v[12:13], v[76:79], off offset:3072
	global_store_dwordx4 v[100:101], v[44:47], off
	global_store_dwordx4 v[100:101], v[58:61], off offset:1024
	global_store_dwordx4 v[100:101], v[72:75], off offset:2048
	global_store_dwordx4 v[100:101], v[76:79], off offset:3072
	v_lshl_add_u64 v[12:13], v[12:13], 0, v[48:49]
	v_lshl_add_u64 v[100:101], v[100:101], 0, v[48:49]
	s_andn2_b64 exec, exec, s[42:43]
	s_cbranch_execnz .LBB12_302
; %bb.303:                              ;   in Loop: Header=BB12_77 Depth=1
	s_or_b64 exec, exec, s[42:43]
.LBB12_304:                             ;   in Loop: Header=BB12_77 Depth=1
	s_or_b64 exec, exec, s[40:41]
	v_lshlrev_b32_e32 v43, 12, v85
	v_cmp_ne_u32_e32 vcc, v2, v43
	s_mov_b64 s[40:41], 0
	v_mov_b32_e32 v85, 0
                                        ; implicit-def: $vgpr102
                                        ; implicit-def: $vgpr103
                                        ; implicit-def: $vgpr10
	s_and_saveexec_b64 s[30:31], vcc
	s_cbranch_execz .LBB12_314
; %bb.305:                              ;   in Loop: Header=BB12_77 Depth=1
	v_lshlrev_b32_e32 v10, 6, v112
	v_sub_u32_e32 v10, v41, v10
	v_ashrrev_i32_e32 v12, 31, v10
	v_lshrrev_b32_e32 v12, 26, v12
	v_add_u32_e32 v12, v10, v12
	v_sub_u32_e32 v11, v2, v43
	v_ashrrev_i32_e32 v13, 6, v12
	v_and_b32_e32 v12, 0xffffffc0, v12
	v_sub_u32_e32 v44, v10, v12
	v_ashrrev_i32_e32 v12, 31, v11
	v_lshrrev_b32_e32 v12, 22, v12
	v_add_u32_e32 v12, v11, v12
	v_and_b32_e32 v45, 0xfffffc00, v12
	v_lshlrev_b32_e32 v10, 4, v44
	v_sub_u32_e32 v47, v11, v45
	v_lshl_add_u32 v10, v13, 10, v10
	v_ashrrev_i32_e32 v100, 10, v12
	v_cmp_lt_i32_e64 s[40:41], 15, v47
	v_sub_u32_e32 v85, v11, v10
	s_nop 0
	v_addc_co_u32_e64 v11, vcc, 0, v100, s[40:41]
	v_sub_u32_e32 v46, v11, v13
	v_cmp_lt_i32_e32 vcc, 15, v85
	s_and_saveexec_b64 s[34:35], vcc
	s_cbranch_execz .LBB12_311
; %bb.306:                              ;   in Loop: Header=BB12_77 Depth=1
	v_add_u32_e32 v10, v10, v43
	v_ashrrev_i32_e32 v11, 31, v10
	v_lshl_add_u64 v[100:101], v[10:11], 0, v[86:87]
	v_lshl_add_u64 v[102:103], v[10:11], 0, v[96:97]
	;; [unrolled: 1-line block ×3, first 2 shown]
	s_mov_b64 s[36:37], 0
.LBB12_307:                             ;   Parent Loop BB12_77 Depth=1
                                        ; =>  This Loop Header: Depth=2
                                        ;       Child Loop BB12_308 Depth 3
	global_load_dwordx4 v[10:13], v[100:101], off nt
	s_mov_b64 s[38:39], -1
	s_mov_b64 s[48:49], 0
	s_waitcnt vmcnt(0)
.LBB12_308:                             ;   Parent Loop BB12_77 Depth=1
                                        ;     Parent Loop BB12_307 Depth=2
                                        ; =>    This Inner Loop Header: Depth=3
	s_cmp_eq_u32 s48, 1
	s_cselect_b64 vcc, -1, 0
	v_cndmask_b32_e32 v59, v103, v113, vcc
	s_cmp_eq_u32 s48, 0
	v_cndmask_b32_e32 v58, v102, v112, vcc
	global_store_dwordx4 v[58:59], v[10:13], off
	v_lshl_add_u64 v[58:59], v[58:59], 0, s[62:63]
	s_cselect_b64 s[42:43], -1, 0
	s_and_b64 s[44:45], exec, s[38:39]
	s_mov_b64 s[48:49], 1
	s_mov_b64 s[38:39], 0
	v_cndmask_b32_e32 v113, v113, v59, vcc
	v_cndmask_b32_e32 v112, v112, v58, vcc
	v_cndmask_b32_e64 v103, v103, v59, s[42:43]
	v_cndmask_b32_e64 v102, v102, v58, s[42:43]
	s_mov_b64 vcc, s[44:45]
	s_cbranch_vccnz .LBB12_308
; %bb.309:                              ;   in Loop: Header=BB12_307 Depth=2
	v_sub_u32_e32 v85, v85, v119
	v_cmp_gt_i32_e32 vcc, 16, v85
	v_lshl_add_u64 v[102:103], v[102:103], 0, v[64:65]
	v_lshl_add_u64 v[112:113], v[112:113], 0, v[64:65]
	v_lshl_add_u64 v[100:101], v[70:71], 0, v[100:101]
	s_or_b64 s[36:37], vcc, s[36:37]
	v_sub_u32_e32 v46, v46, v34
	s_andn2_b64 exec, exec, s[36:37]
	s_cbranch_execnz .LBB12_307
; %bb.310:                              ;   in Loop: Header=BB12_77 Depth=1
	s_or_b64 exec, exec, s[36:37]
.LBB12_311:                             ;   in Loop: Header=BB12_77 Depth=1
	s_or_b64 exec, exec, s[34:35]
	v_and_b32_e32 v11, 15, v2
	v_cndmask_b32_e64 v102, v47, v11, s[40:41]
	v_mov_b32_e32 v85, 0
	v_cmp_ne_u32_e32 vcc, 0, v102
	s_mov_b64 s[42:43], 0
                                        ; implicit-def: $vgpr103
                                        ; implicit-def: $vgpr10
	s_and_saveexec_b64 s[44:45], vcc
	s_cbranch_execz .LBB12_313
; %bb.312:                              ;   in Loop: Header=BB12_77 Depth=1
	v_sub_u32_e32 v10, v47, v11
	v_cndmask_b32_e64 v10, 0, v10, s[40:41]
	v_cmp_lt_i32_e32 vcc, 0, v46
	v_add3_u32 v85, v45, v43, v10
	s_mov_b64 s[42:43], exec
	v_cndmask_b32_e32 v10, 0, v34, vcc
	v_sub_u32_e32 v10, v10, v46
	v_lshl_add_u32 v103, v10, 6, v44
	v_ashrrev_i32_e32 v10, 31, v103
	v_lshrrev_b32_e32 v10, 26, v10
	v_add_u32_e32 v10, v103, v10
	v_ashrrev_i32_e32 v10, 6, v10
.LBB12_313:                             ;   in Loop: Header=BB12_77 Depth=1
	s_or_b64 exec, exec, s[44:45]
	s_and_b64 s[40:41], s[42:43], exec
.LBB12_314:                             ;   in Loop: Header=BB12_77 Depth=1
	s_or_b64 exec, exec, s[30:31]
.LBB12_315:                             ;   in Loop: Header=BB12_77 Depth=1
	s_and_saveexec_b64 s[44:45], s[40:41]
	s_cbranch_execz .LBB12_326
; %bb.316:                              ;   in Loop: Header=BB12_77 Depth=1
	v_ashrrev_i32_e32 v11, 31, v102
	v_lshrrev_b32_e32 v11, 21, v11
	v_add_u32_e32 v11, v102, v11
	v_ashrrev_i32_e32 v43, 11, v11
	v_sub_u32_e32 v112, v43, v10
	v_cmp_lt_i32_e32 vcc, 0, v112
	v_ashrrev_i32_e32 v113, 31, v103
	s_and_saveexec_b64 s[40:41], vcc
	s_cbranch_execz .LBB12_320
; %bb.317:                              ;   in Loop: Header=BB12_77 Depth=1
	v_lshrrev_b32_e32 v11, 26, v113
	v_add_u32_e32 v11, v103, v11
	v_and_b32_e32 v11, 0xffffffc0, v11
	v_sub_u32_e32 v11, v103, v11
	v_lshlrev_b32_e32 v10, 11, v10
	v_add3_u32 v100, v85, v11, v10
	v_ashrrev_i32_e32 v101, 31, v100
	v_lshl_add_u64 v[12:13], v[100:101], 0, v[98:99]
	v_lshl_add_u64 v[98:99], v[86:87], 0, s[74:75]
	;; [unrolled: 1-line block ×4, first 2 shown]
	s_mov_b64 s[42:43], 0
.LBB12_318:                             ;   Parent Loop BB12_77 Depth=1
                                        ; =>  This Inner Loop Header: Depth=2
	v_add_co_u32_e32 v100, vcc, 0xfffff840, v98
	flat_load_ubyte v44, v[98:99] nt
	s_nop 0
	v_addc_co_u32_e32 v101, vcc, -1, v99, vcc
	v_add_co_u32_e32 v46, vcc, 0xfffff880, v98
	flat_load_ubyte v45, v[100:101] nt
	s_nop 0
	v_addc_co_u32_e32 v47, vcc, -1, v99, vcc
	;; [unrolled: 4-line block ×31, first 2 shown]
	flat_load_ubyte v100, v[100:101] nt
	v_sub_u32_e32 v112, v112, v34
	v_cmp_gt_i32_e32 vcc, 1, v112
	s_or_b64 s[42:43], vcc, s[42:43]
	v_lshl_add_u64 v[98:99], v[98:99], 0, v[50:51]
	s_waitcnt vmcnt(0) lgkmcnt(0)
	flat_store_byte v[10:11], v44 offset:1984 nt
	flat_store_byte v[10:11], v45 nt
	flat_store_byte v[10:11], v58 offset:64 nt
	flat_store_byte v[10:11], v59 offset:128 nt
	;; [unrolled: 1-line block ×30, first 2 shown]
	flat_store_byte v[12:13], v45 nt
	flat_store_byte v[12:13], v58 offset:64 nt
	flat_store_byte v[12:13], v59 offset:128 nt
	flat_store_byte v[12:13], v60 offset:192 nt
	flat_store_byte v[12:13], v61 offset:256 nt
	flat_store_byte v[12:13], v62 offset:320 nt
	flat_store_byte v[12:13], v63 offset:384 nt
	flat_store_byte v[12:13], v72 offset:448 nt
	flat_store_byte v[12:13], v73 offset:512 nt
	flat_store_byte v[12:13], v74 offset:576 nt
	flat_store_byte v[12:13], v75 offset:640 nt
	flat_store_byte v[12:13], v76 offset:704 nt
	flat_store_byte v[12:13], v77 offset:768 nt
	flat_store_byte v[12:13], v78 offset:832 nt
	flat_store_byte v[12:13], v79 offset:896 nt
	flat_store_byte v[12:13], v88 offset:960 nt
	flat_store_byte v[12:13], v89 offset:1024 nt
	flat_store_byte v[12:13], v90 offset:1088 nt
	flat_store_byte v[12:13], v91 offset:1152 nt
	flat_store_byte v[12:13], v92 offset:1216 nt
	flat_store_byte v[12:13], v93 offset:1280 nt
	flat_store_byte v[12:13], v94 offset:1344 nt
	flat_store_byte v[12:13], v95 offset:1408 nt
	flat_store_byte v[12:13], v104 offset:1472 nt
	flat_store_byte v[12:13], v105 offset:1536 nt
	flat_store_byte v[12:13], v106 offset:1600 nt
	flat_store_byte v[12:13], v107 offset:1664 nt
	flat_store_byte v[12:13], v108 offset:1728 nt
	flat_store_byte v[12:13], v109 offset:1792 nt
	flat_store_byte v[12:13], v46 offset:1856 nt
	flat_store_byte v[12:13], v100 offset:1920 nt
	flat_store_byte v[12:13], v44 offset:1984 nt
	v_lshl_add_u64 v[10:11], v[10:11], 0, v[50:51]
	v_lshl_add_u64 v[12:13], v[12:13], 0, v[50:51]
	s_andn2_b64 exec, exec, s[42:43]
	s_cbranch_execnz .LBB12_318
; %bb.319:                              ;   in Loop: Header=BB12_77 Depth=1
	s_or_b64 exec, exec, s[42:43]
.LBB12_320:                             ;   in Loop: Header=BB12_77 Depth=1
	s_or_b64 exec, exec, s[40:41]
	v_lshlrev_b32_e32 v10, 11, v43
	v_cmp_ne_u32_e32 vcc, v102, v10
	s_and_b64 exec, exec, vcc
	s_cbranch_execz .LBB12_326
; %bb.321:                              ;   in Loop: Header=BB12_77 Depth=1
	v_lshrrev_b32_e32 v11, 26, v113
	v_add_u32_e32 v11, v103, v11
	v_and_b32_e32 v11, 0xffffffc0, v11
	v_sub_u32_e32 v11, v103, v11
	v_lshlrev_b32_e32 v12, 6, v112
	v_sub_u32_e32 v11, v11, v12
	v_add_u32_e32 v10, v10, v11
	v_sub_u32_e32 v100, v102, v10
	v_cmp_lt_i32_e32 vcc, 0, v100
	s_and_b64 exec, exec, vcc
	s_cbranch_execz .LBB12_326
; %bb.322:                              ;   in Loop: Header=BB12_77 Depth=1
	s_trap 2
	ds_read_b64 v[12:13], v0
	ds_read_b128 v[44:47], v0
	v_add_u32_e32 v98, v10, v85
	v_ashrrev_i32_e32 v99, 31, v98
	s_mov_b64 s[30:31], 0
	s_waitcnt lgkmcnt(0)
	v_lshl_add_u64 v[10:11], v[12:13], 0, v[98:99]
	v_lshl_add_u64 v[12:13], v[44:45], 0, v[98:99]
	;; [unrolled: 1-line block ×3, first 2 shown]
.LBB12_323:                             ;   Parent Loop BB12_77 Depth=1
                                        ; =>  This Loop Header: Depth=2
                                        ;       Child Loop BB12_324 Depth 3
	flat_load_ubyte v85, v[10:11] nt
	s_mov_b64 s[34:35], -1
	s_mov_b64 s[36:37], 0
	s_waitcnt vmcnt(0)
.LBB12_324:                             ;   Parent Loop BB12_77 Depth=1
                                        ;     Parent Loop BB12_323 Depth=2
                                        ; =>    This Inner Loop Header: Depth=3
	s_cmp_eq_u32 s36, 1
	s_cselect_b64 vcc, -1, 0
	v_cndmask_b32_e32 v103, v13, v99, vcc
	s_cmp_eq_u32 s36, 0
	v_cndmask_b32_e32 v102, v12, v98, vcc
	s_waitcnt lgkmcnt(0)
	flat_store_byte v[102:103], v85 nt
	v_lshl_add_u64 v[102:103], v[102:103], 0, 64
	s_cselect_b64 s[40:41], -1, 0
	s_and_b64 s[42:43], exec, s[34:35]
	s_mov_b64 s[36:37], 1
	s_mov_b64 s[34:35], 0
	v_cndmask_b32_e32 v99, v99, v103, vcc
	v_cndmask_b32_e32 v98, v98, v102, vcc
	v_cndmask_b32_e64 v13, v13, v103, s[40:41]
	v_cndmask_b32_e64 v12, v12, v102, s[40:41]
	s_mov_b64 vcc, s[42:43]
	s_cbranch_vccnz .LBB12_324
; %bb.325:                              ;   in Loop: Header=BB12_323 Depth=2
	v_sub_u32_e32 v100, v100, v115
	v_cmp_gt_i32_e32 vcc, 1, v100
	v_lshl_add_u64 v[12:13], v[12:13], 0, v[52:53]
	v_lshl_add_u64 v[98:99], v[98:99], 0, v[52:53]
	s_or_b64 s[30:31], vcc, s[30:31]
	v_lshl_add_u64 v[10:11], v[68:69], 0, v[10:11]
	s_andn2_b64 exec, exec, s[30:31]
	s_cbranch_execnz .LBB12_323
.LBB12_326:                             ;   in Loop: Header=BB12_77 Depth=1
	s_or_b64 exec, exec, s[44:45]
	s_branch .LBB12_362
.LBB12_327:                             ;   in Loop: Header=BB12_77 Depth=1
	s_mov_b64 s[40:41], -1
	s_and_saveexec_b64 s[42:43], s[22:23]
	s_cbranch_execz .LBB12_329
; %bb.328:                              ;   in Loop: Header=BB12_77 Depth=1
	ds_read_b32 v10, v0 offset:720
	s_waitcnt lgkmcnt(0)
	v_and_b32_e32 v10, 15, v10
	v_cmp_eq_u32_e32 vcc, 0, v10
	s_orn2_b64 s[40:41], vcc, exec
.LBB12_329:                             ;   in Loop: Header=BB12_77 Depth=1
	s_or_b64 exec, exec, s[42:43]
	s_and_saveexec_b64 s[42:43], s[22:23]
	s_cbranch_execz .LBB12_331
; %bb.330:                              ;   in Loop: Header=BB12_77 Depth=1
	ds_read_b32 v10, v0 offset:784
	s_waitcnt lgkmcnt(0)
	v_and_b32_e32 v10, 15, v10
	v_cmp_eq_u32_e32 vcc, 0, v10
	s_and_b64 s[44:45], s[40:41], vcc
	s_andn2_b64 s[40:41], s[40:41], exec
	s_and_b64 s[44:45], s[44:45], exec
	s_or_b64 s[40:41], s[40:41], s[44:45]
.LBB12_331:                             ;   in Loop: Header=BB12_77 Depth=1
	s_or_b64 exec, exec, s[42:43]
	s_xor_b64 s[40:41], s[40:41], -1
	v_cndmask_b32_e64 v10, 0, 1, s[40:41]
	s_mov_b64 s[44:45], -1
	v_mov_b32_e32 v12, 0
	v_cmp_ne_u32_e32 vcc, 0, v10
	v_mov_b32_e32 v13, v2
	v_mov_b32_e32 v85, v0
	;; [unrolled: 1-line block ×3, first 2 shown]
	s_cbranch_vccnz .LBB12_345
; %bb.332:                              ;   in Loop: Header=BB12_77 Depth=1
	v_ashrrev_i32_e32 v10, 31, v2
	v_lshrrev_b32_e32 v10, 19, v10
	v_add_u32_e32 v10, v2, v10
	v_ashrrev_i32_e32 v85, 13, v10
	v_sub_u32_e32 v99, v85, v40
	v_cmp_lt_i32_e32 vcc, 0, v99
	s_and_saveexec_b64 s[42:43], vcc
	s_cbranch_execz .LBB12_336
; %bb.333:                              ;   in Loop: Header=BB12_77 Depth=1
	s_mov_b64 s[44:45], 0
	v_mov_b64_e32 v[10:11], v[96:97]
	v_mov_b64_e32 v[12:13], v[86:87]
.LBB12_334:                             ;   Parent Loop BB12_77 Depth=1
                                        ; =>  This Inner Loop Header: Depth=2
	v_lshl_add_u64 v[112:113], v[82:83], 0, v[12:13]
	global_load_dwordx4 v[100:103], v[112:113], off nt
	global_load_dwordx4 v[44:47], v[112:113], off offset:1024 nt
	global_load_dwordx4 v[58:61], v[112:113], off offset:2048 nt
	global_load_dwordx4 v[72:75], v[112:113], off offset:3072 nt
	v_add_co_u32_e32 v112, vcc, 0x1000, v112
	v_sub_u32_e32 v99, v99, v34
	s_nop 0
	v_addc_co_u32_e32 v113, vcc, 0, v113, vcc
	global_load_dwordx4 v[76:79], v[112:113], off nt
	global_load_dwordx4 v[88:91], v[112:113], off offset:1024 nt
	global_load_dwordx4 v[92:95], v[112:113], off offset:2048 nt
	;; [unrolled: 1-line block ×3, first 2 shown]
	v_lshl_add_u64 v[112:113], v[82:83], 0, v[10:11]
	v_cmp_gt_i32_e64 s[40:41], 1, v99
	v_lshl_add_u64 v[12:13], v[12:13], 0, v[54:55]
	v_lshl_add_u64 v[10:11], v[10:11], 0, v[54:55]
	v_add_co_u32_e32 v62, vcc, 0x1000, v112
	s_or_b64 s[44:45], s[40:41], s[44:45]
	s_nop 0
	v_addc_co_u32_e32 v63, vcc, 0, v113, vcc
	s_waitcnt vmcnt(0)
	global_store_dwordx4 v[112:113], v[100:103], off
	global_store_dwordx4 v[112:113], v[44:47], off offset:1024
	global_store_dwordx4 v[112:113], v[58:61], off offset:2048
	global_store_dwordx4 v[112:113], v[72:75], off offset:3072
	global_store_dwordx4 v[62:63], v[76:79], off
	global_store_dwordx4 v[62:63], v[88:91], off offset:1024
	global_store_dwordx4 v[62:63], v[92:95], off offset:2048
	;; [unrolled: 1-line block ×3, first 2 shown]
	s_andn2_b64 exec, exec, s[44:45]
	s_cbranch_execnz .LBB12_334
; %bb.335:                              ;   in Loop: Header=BB12_77 Depth=1
	s_or_b64 exec, exec, s[44:45]
.LBB12_336:                             ;   in Loop: Header=BB12_77 Depth=1
	s_or_b64 exec, exec, s[42:43]
	v_lshlrev_b32_e32 v98, 13, v85
	v_cmp_ne_u32_e32 vcc, v2, v98
	s_mov_b64 s[44:45], 0
	v_mov_b32_e32 v12, 0
                                        ; implicit-def: $vgpr13
                                        ; implicit-def: $vgpr85
                                        ; implicit-def: $vgpr10
	s_and_saveexec_b64 s[42:43], vcc
	s_cbranch_execz .LBB12_344
; %bb.337:                              ;   in Loop: Header=BB12_77 Depth=1
	v_lshlrev_b32_e32 v10, 6, v99
	v_sub_u32_e32 v10, v41, v10
	v_sub_u32_e32 v11, v2, v98
	v_ashrrev_i32_e32 v12, 31, v10
	v_lshrrev_b32_e32 v12, 26, v12
	v_ashrrev_i32_e32 v85, 31, v11
	v_add_u32_e32 v12, v10, v12
	v_lshrrev_b32_e32 v85, 22, v85
	v_ashrrev_i32_e32 v13, 6, v12
	v_and_b32_e32 v12, 0xffffffc0, v12
	v_add_u32_e32 v85, v11, v85
	v_sub_u32_e32 v99, v10, v12
	v_and_b32_e32 v100, 0xfffffc00, v85
	v_lshlrev_b32_e32 v10, 4, v99
	v_sub_u32_e32 v102, v11, v100
	v_lshl_add_u32 v10, v13, 10, v10
	v_ashrrev_i32_e32 v101, 10, v85
	v_cmp_lt_i32_e32 vcc, 15, v102
	v_sub_u32_e32 v12, v11, v10
	s_nop 0
	v_addc_co_u32_e64 v11, s[40:41], 0, v101, vcc
	v_sub_u32_e32 v101, v11, v13
	v_cmp_lt_i32_e64 s[40:41], 15, v12
	s_and_saveexec_b64 s[44:45], s[40:41]
	s_cbranch_execz .LBB12_341
; %bb.338:                              ;   in Loop: Header=BB12_77 Depth=1
	v_add_u32_e32 v10, v10, v98
	v_ashrrev_i32_e32 v11, 31, v10
	s_mov_b64 s[30:31], 0
.LBB12_339:                             ;   Parent Loop BB12_77 Depth=1
                                        ; =>  This Inner Loop Header: Depth=2
	v_lshl_add_u64 v[112:113], v[86:87], 0, v[10:11]
	global_load_dwordx4 v[44:47], v[112:113], off nt
	v_sub_u32_e32 v12, v12, v119
	v_cmp_gt_i32_e64 s[40:41], 16, v12
	v_lshl_add_u64 v[112:113], v[96:97], 0, v[10:11]
	v_sub_u32_e32 v101, v101, v34
	v_lshl_add_u64 v[10:11], v[10:11], 0, v[70:71]
	s_or_b64 s[30:31], s[40:41], s[30:31]
	s_waitcnt vmcnt(0)
	global_store_dwordx4 v[112:113], v[44:47], off
	s_andn2_b64 exec, exec, s[30:31]
	s_cbranch_execnz .LBB12_339
; %bb.340:                              ;   in Loop: Header=BB12_77 Depth=1
	s_or_b64 exec, exec, s[30:31]
.LBB12_341:                             ;   in Loop: Header=BB12_77 Depth=1
	s_or_b64 exec, exec, s[44:45]
	v_and_b32_e32 v11, 15, v2
	v_cndmask_b32_e32 v13, v102, v11, vcc
	v_mov_b32_e32 v12, 0
	v_cmp_ne_u32_e64 s[40:41], 0, v13
	s_mov_b64 s[44:45], 0
                                        ; implicit-def: $vgpr85
                                        ; implicit-def: $vgpr10
	s_and_saveexec_b64 s[30:31], s[40:41]
	s_cbranch_execz .LBB12_343
; %bb.342:                              ;   in Loop: Header=BB12_77 Depth=1
	v_sub_u32_e32 v10, v102, v11
	v_cndmask_b32_e32 v10, 0, v10, vcc
	v_cmp_lt_i32_e32 vcc, 0, v101
	v_add3_u32 v12, v100, v98, v10
	s_mov_b64 s[44:45], exec
	v_cndmask_b32_e32 v10, 0, v34, vcc
	v_sub_u32_e32 v10, v10, v101
	v_lshl_add_u32 v85, v10, 6, v99
	v_ashrrev_i32_e32 v10, 31, v85
	v_lshrrev_b32_e32 v10, 26, v10
	v_add_u32_e32 v10, v85, v10
	v_ashrrev_i32_e32 v10, 6, v10
.LBB12_343:                             ;   in Loop: Header=BB12_77 Depth=1
	s_or_b64 exec, exec, s[30:31]
	s_and_b64 s[44:45], s[44:45], exec
.LBB12_344:                             ;   in Loop: Header=BB12_77 Depth=1
	s_or_b64 exec, exec, s[42:43]
.LBB12_345:                             ;   in Loop: Header=BB12_77 Depth=1
	s_and_saveexec_b64 s[40:41], s[44:45]
	s_cbranch_execz .LBB12_354
; %bb.346:                              ;   in Loop: Header=BB12_77 Depth=1
	v_ashrrev_i32_e32 v11, 31, v13
	v_lshrrev_b32_e32 v11, 21, v11
	v_add_u32_e32 v11, v13, v11
	v_ashrrev_i32_e32 v99, 11, v11
	v_sub_u32_e32 v98, v99, v10
	v_cmp_lt_i32_e32 vcc, 0, v98
	s_and_saveexec_b64 s[42:43], vcc
	s_cbranch_execz .LBB12_350
; %bb.347:                              ;   in Loop: Header=BB12_77 Depth=1
	v_ashrrev_i32_e32 v11, 31, v85
	v_lshrrev_b32_e32 v11, 26, v11
	v_add_u32_e32 v11, v85, v11
	v_and_b32_e32 v11, 0xffffffc0, v11
	v_sub_u32_e32 v11, v85, v11
	v_lshlrev_b32_e32 v10, 11, v10
	v_add3_u32 v10, v12, v11, v10
	v_ashrrev_i32_e32 v11, 31, v10
	s_mov_b64 s[44:45], 0
.LBB12_348:                             ;   Parent Loop BB12_77 Depth=1
                                        ; =>  This Inner Loop Header: Depth=2
	v_lshl_add_u64 v[100:101], v[10:11], 0, v[86:87]
	flat_load_ubyte v102, v[100:101] nt
	flat_load_ubyte v103, v[100:101] offset:64 nt
	flat_load_ubyte v112, v[100:101] offset:128 nt
	;; [unrolled: 1-line block ×31, first 2 shown]
	v_sub_u32_e32 v98, v98, v34
	v_cmp_gt_i32_e32 vcc, 1, v98
	v_lshl_add_u64 v[100:101], v[10:11], 0, v[96:97]
	v_lshl_add_u64 v[86:87], v[86:87], 0, v[50:51]
	;; [unrolled: 1-line block ×3, first 2 shown]
	s_or_b64 s[44:45], vcc, s[44:45]
	s_waitcnt vmcnt(0) lgkmcnt(0)
	flat_store_byte v[100:101], v102 nt
	flat_store_byte v[100:101], v103 offset:64 nt
	flat_store_byte v[100:101], v112 offset:128 nt
	;; [unrolled: 1-line block ×31, first 2 shown]
	s_andn2_b64 exec, exec, s[44:45]
	s_cbranch_execnz .LBB12_348
; %bb.349:                              ;   in Loop: Header=BB12_77 Depth=1
	s_or_b64 exec, exec, s[44:45]
.LBB12_350:                             ;   in Loop: Header=BB12_77 Depth=1
	s_or_b64 exec, exec, s[42:43]
	v_lshlrev_b32_e32 v10, 11, v99
	v_cmp_ne_u32_e32 vcc, v13, v10
	s_and_b64 exec, exec, vcc
	s_cbranch_execz .LBB12_354
; %bb.351:                              ;   in Loop: Header=BB12_77 Depth=1
	v_ashrrev_i32_e32 v11, 31, v85
	v_lshrrev_b32_e32 v11, 26, v11
	v_add_u32_e32 v11, v85, v11
	v_and_b32_e32 v11, 0xffffffc0, v11
	v_sub_u32_e32 v11, v85, v11
	v_lshlrev_b32_e32 v85, 6, v98
	v_sub_u32_e32 v11, v11, v85
	v_add_u32_e32 v86, v10, v11
	v_sub_u32_e32 v85, v13, v86
	v_cmp_lt_i32_e32 vcc, 0, v85
	s_and_b64 exec, exec, vcc
	s_cbranch_execz .LBB12_354
; %bb.352:                              ;   in Loop: Header=BB12_77 Depth=1
	s_trap 2
	ds_read_b64 v[10:11], v0
	v_add_u32_e32 v12, v86, v12
	v_ashrrev_i32_e32 v13, 31, v12
	s_mov_b64 s[42:43], 0
.LBB12_353:                             ;   Parent Loop BB12_77 Depth=1
                                        ; =>  This Inner Loop Header: Depth=2
	s_waitcnt lgkmcnt(0)
	v_lshl_add_u64 v[86:87], v[10:11], 0, v[12:13]
	flat_load_ubyte v96, v[86:87] nt
	v_sub_u32_e32 v85, v85, v115
	v_cmp_gt_i32_e32 vcc, 1, v85
	v_lshl_add_u64 v[12:13], v[12:13], 0, v[68:69]
	s_or_b64 s[42:43], vcc, s[42:43]
	s_waitcnt vmcnt(0) lgkmcnt(0)
	flat_store_byte v[86:87], v96 nt
	s_andn2_b64 exec, exec, s[42:43]
	s_cbranch_execnz .LBB12_353
.LBB12_354:                             ;   in Loop: Header=BB12_77 Depth=1
	s_or_b64 exec, exec, s[40:41]
	v_cmp_lt_i32_e64 s[40:41], 0, v2
	s_and_saveexec_b64 s[42:43], s[10:11]
	s_cbranch_execnz .LBB12_363
.LBB12_355:                             ;   in Loop: Header=BB12_77 Depth=1
	s_or_b64 exec, exec, s[42:43]
                                        ; implicit-def: $vgpr2
	s_and_saveexec_b64 s[42:43], s[24:25]
	s_xor_b64 s[42:43], exec, s[42:43]
	s_cbranch_execz .LBB12_400
.LBB12_356:                             ;   in Loop: Header=BB12_77 Depth=1
	v_and_b32_e32 v10, 16, v114
	v_cmp_ne_u32_e32 vcc, 0, v10
	v_and_b32_e32 v2, 16, v114
	s_and_b64 s[44:45], vcc, s[40:41]
	s_and_saveexec_b64 s[40:41], s[44:45]
	s_cbranch_execz .LBB12_358
; %bb.357:                              ;   in Loop: Header=BB12_77 Depth=1
	v_mov_b32_e32 v2, 1
	buffer_wbl2 sc1
	s_waitcnt vmcnt(0) lgkmcnt(0)
	buffer_inv sc1
.LBB12_358:                             ;   in Loop: Header=BB12_77 Depth=1
	s_or_b64 exec, exec, s[40:41]
	s_andn2_saveexec_b64 s[40:41], s[42:43]
	s_cbranch_execnz .LBB12_401
.LBB12_359:                             ;   in Loop: Header=BB12_77 Depth=1
	s_or_b64 exec, exec, s[40:41]
	v_cmp_ne_u32_e32 vcc, 0, v2
	s_and_saveexec_b64 s[40:41], vcc
	s_cbranch_execnz .LBB12_474
	s_branch .LBB12_477
.LBB12_360:                             ;   in Loop: Header=BB12_77 Depth=1
	s_mov_b64 s[40:41], 0
	s_and_saveexec_b64 s[42:43], s[10:11]
	s_cbranch_execnz .LBB12_363
	s_branch .LBB12_355
.LBB12_361:                             ;   in Loop: Header=BB12_77 Depth=1
	s_cbranch_execnz .LBB12_327
.LBB12_362:                             ;   in Loop: Header=BB12_77 Depth=1
	v_cmp_lt_i32_e64 s[40:41], 0, v2
	s_and_saveexec_b64 s[42:43], s[10:11]
	s_cbranch_execz .LBB12_355
.LBB12_363:                             ;   in Loop: Header=BB12_77 Depth=1
	s_and_saveexec_b64 s[44:45], s[60:61]
	s_xor_b64 s[44:45], exec, s[44:45]
	s_cbranch_execz .LBB12_397
; %bb.364:                              ;   in Loop: Header=BB12_77 Depth=1
	s_and_saveexec_b64 s[30:31], s[16:17]
	s_cbranch_execz .LBB12_396
; %bb.365:                              ;   in Loop: Header=BB12_77 Depth=1
	s_mov_b64 s[36:37], exec
	v_mbcnt_lo_u32_b32 v2, s36, 0
	v_mbcnt_hi_u32_b32 v2, s37, v2
	v_cmp_eq_u32_e32 vcc, 0, v2
	s_waitcnt lgkmcnt(0)
	s_and_saveexec_b64 s[34:35], vcc
	s_cbranch_execz .LBB12_367
; %bb.366:                              ;   in Loop: Header=BB12_77 Depth=1
	s_bcnt1_i32_b64 vcc_lo, s[36:37]
	v_mov_b32_e32 v2, vcc_lo
	ds_add_u64 v0, v[2:3]
	s_trap 2
.LBB12_367:                             ;   in Loop: Header=BB12_77 Depth=1
	s_or_b64 exec, exec, s[34:35]
	s_trap 2
	ds_read_b64 v[10:11], v0
	s_waitcnt lgkmcnt(0)
	v_lshl_add_u64 v[26:27], v[26:27], 0, v[34:35]
	v_cmp_lt_u64_e32 vcc, v[10:11], v[26:27]
	s_and_saveexec_b64 s[34:35], vcc
	s_cbranch_execz .LBB12_395
; %bb.368:                              ;   in Loop: Header=BB12_77 Depth=1
	s_mov_b32 s54, 0
	s_mov_b64 s[36:37], 0
                                        ; implicit-def: $sgpr38_sgpr39
                                        ; implicit-def: $sgpr48_sgpr49
	s_branch .LBB12_370
.LBB12_369:                             ;   in Loop: Header=BB12_370 Depth=2
	s_or_b64 exec, exec, s[52:53]
	s_and_b64 vcc, exec, vcc
	s_or_b64 s[36:37], vcc, s[36:37]
	s_andn2_b64 vcc, s[38:39], exec
	s_and_b64 s[38:39], s[48:49], exec
	s_or_b64 s[38:39], vcc, s[38:39]
	s_andn2_b64 exec, exec, s[36:37]
	s_cbranch_execz .LBB12_393
.LBB12_370:                             ;   Parent Loop BB12_77 Depth=1
                                        ; =>  This Inner Loop Header: Depth=2
	s_add_i32 s54, s54, 1
	s_cmpk_lg_i32 s54, 0x2710
	s_cselect_b64 s[50:51], -1, 0
	s_and_b64 vcc, exec, s[50:51]
	s_cbranch_vccz .LBB12_372
; %bb.371:                              ;   in Loop: Header=BB12_370 Depth=2
	s_mov_b64 vcc, -1
	s_or_b64 s[48:49], s[48:49], exec
	s_and_saveexec_b64 s[52:53], s[50:51]
	s_cbranch_execz .LBB12_369
	s_branch .LBB12_373
.LBB12_372:                             ;   in Loop: Header=BB12_370 Depth=2
	s_trap 2
	ds_read_b64 v[10:11], v0
	s_andn2_b64 s[50:51], s[50:51], exec
	s_mov_b32 s54, 0
	s_waitcnt vmcnt(0) lgkmcnt(0)
	flat_load_dword v2, v[10:11] sc0 sc1
	s_waitcnt vmcnt(0) lgkmcnt(0)
	buffer_inv sc0 sc1
	v_cmp_eq_u32_e32 vcc, 0, v2
	s_and_b64 vcc, vcc, exec
	s_or_b64 s[50:51], s[50:51], vcc
	s_mov_b64 vcc, -1
	s_or_b64 s[48:49], s[48:49], exec
	s_and_saveexec_b64 s[52:53], s[50:51]
	s_cbranch_execz .LBB12_369
.LBB12_373:                             ;   in Loop: Header=BB12_370 Depth=2
	s_sleep 1
	s_trap 2
	ds_read_b64 v[10:11], v0
	s_waitcnt lgkmcnt(0)
	s_andn2_b64 s[48:49], s[48:49], exec
	v_cmp_ge_u64_e32 vcc, v[10:11], v[26:27]
	s_orn2_b64 vcc, vcc, exec
	s_branch .LBB12_369
.LBB12_374:                             ;   in Loop: Header=BB12_77 Depth=1
	s_or_b64 exec, exec, s[34:35]
	s_and_saveexec_b64 vcc, s[36:37]
	s_xor_b64 vcc, exec, vcc
	s_cbranch_execz .LBB12_376
; %bb.375:                              ;   in Loop: Header=BB12_77 Depth=1
	ds_write_b32 v0, v116
	s_trap 2
.LBB12_376:                             ;   in Loop: Header=BB12_77 Depth=1
	s_or_b64 exec, exec, s[30:31]
	;;#ASMSTART
	s_wakeup
	;;#ASMEND
.LBB12_377:                             ;   in Loop: Header=BB12_77 Depth=1
	s_or_b64 exec, exec, s[94:95]
.LBB12_378:                             ;   in Loop: Header=BB12_77 Depth=1
	s_andn2_saveexec_b64 s[44:45], s[44:45]
	s_cbranch_execz .LBB12_380
; %bb.379:                              ;   in Loop: Header=BB12_77 Depth=1
	s_waitcnt lgkmcnt(0)
	s_barrier
.LBB12_380:                             ;   in Loop: Header=BB12_77 Depth=1
	s_or_b64 exec, exec, s[44:45]
	s_or_b64 exec, exec, s[42:43]
                                        ; implicit-def: $vgpr2
	s_and_saveexec_b64 s[42:43], s[24:25]
	s_xor_b64 s[42:43], exec, s[42:43]
	s_cbranch_execnz .LBB12_268
.LBB12_381:                             ;   in Loop: Header=BB12_77 Depth=1
	s_andn2_saveexec_b64 s[40:41], s[42:43]
	s_cbranch_execz .LBB12_419
.LBB12_382:                             ;   in Loop: Header=BB12_77 Depth=1
	s_and_saveexec_b64 s[42:43], s[60:61]
	s_xor_b64 s[42:43], exec, s[42:43]
	s_cbranch_execz .LBB12_416
; %bb.383:                              ;   in Loop: Header=BB12_77 Depth=1
	s_and_saveexec_b64 s[44:45], s[16:17]
	s_cbranch_execz .LBB12_415
; %bb.384:                              ;   in Loop: Header=BB12_77 Depth=1
	s_mov_b64 s[30:31], exec
	v_mbcnt_lo_u32_b32 v2, s30, 0
	v_mbcnt_hi_u32_b32 v2, s31, v2
	v_cmp_eq_u32_e32 vcc, 0, v2
	;;#ASMSTART
	s_waitcnt lgkmcnt(0) vmcnt(0)
	;;#ASMEND
	s_and_saveexec_b64 s[94:95], vcc
	s_cbranch_execz .LBB12_386
; %bb.385:                              ;   in Loop: Header=BB12_77 Depth=1
	s_bcnt1_i32_b64 vcc_lo, s[30:31]
	v_mov_b32_e32 v2, vcc_lo
	s_waitcnt lgkmcnt(0)
	ds_add_u64 v0, v[2:3]
	s_trap 2
.LBB12_386:                             ;   in Loop: Header=BB12_77 Depth=1
	s_or_b64 exec, exec, s[94:95]
	s_trap 2
	ds_read_b64 v[10:11], v0
	s_waitcnt lgkmcnt(0)
	v_lshl_add_u64 v[26:27], v[26:27], 0, v[34:35]
	v_cmp_lt_u64_e32 vcc, v[10:11], v[26:27]
	s_and_saveexec_b64 s[94:95], vcc
	s_cbranch_execz .LBB12_414
; %bb.387:                              ;   in Loop: Header=BB12_77 Depth=1
	s_mov_b32 s50, 0
	s_mov_b64 s[30:31], 0
                                        ; implicit-def: $sgpr34_sgpr35
                                        ; implicit-def: $sgpr36_sgpr37
	s_branch .LBB12_389
.LBB12_388:                             ;   in Loop: Header=BB12_389 Depth=2
	s_or_b64 exec, exec, s[48:49]
	s_and_b64 vcc, exec, vcc
	s_or_b64 s[30:31], vcc, s[30:31]
	s_andn2_b64 vcc, s[34:35], exec
	s_and_b64 s[34:35], s[36:37], exec
	s_or_b64 s[34:35], vcc, s[34:35]
	s_andn2_b64 exec, exec, s[30:31]
	s_cbranch_execz .LBB12_412
.LBB12_389:                             ;   Parent Loop BB12_77 Depth=1
                                        ; =>  This Inner Loop Header: Depth=2
	s_add_i32 s50, s50, 1
	s_cmpk_lg_i32 s50, 0x2710
	s_cselect_b64 s[38:39], -1, 0
	s_and_b64 vcc, exec, s[38:39]
	s_cbranch_vccz .LBB12_391
; %bb.390:                              ;   in Loop: Header=BB12_389 Depth=2
	s_mov_b64 vcc, -1
	s_or_b64 s[36:37], s[36:37], exec
	s_and_saveexec_b64 s[48:49], s[38:39]
	s_cbranch_execz .LBB12_388
	s_branch .LBB12_392
.LBB12_391:                             ;   in Loop: Header=BB12_389 Depth=2
	s_trap 2
	ds_read_b64 v[10:11], v0
	s_andn2_b64 s[38:39], s[38:39], exec
	s_mov_b32 s50, 0
	s_waitcnt vmcnt(0) lgkmcnt(0)
	flat_load_dword v2, v[10:11] sc0 sc1
	s_waitcnt vmcnt(0) lgkmcnt(0)
	buffer_inv sc0 sc1
	v_cmp_eq_u32_e32 vcc, 0, v2
	s_and_b64 vcc, vcc, exec
	s_or_b64 s[38:39], s[38:39], vcc
	s_mov_b64 vcc, -1
	s_or_b64 s[36:37], s[36:37], exec
	s_and_saveexec_b64 s[48:49], s[38:39]
	s_cbranch_execz .LBB12_388
.LBB12_392:                             ;   in Loop: Header=BB12_389 Depth=2
	s_sleep 1
	s_trap 2
	ds_read_b64 v[10:11], v0
	s_waitcnt lgkmcnt(0)
	s_andn2_b64 s[36:37], s[36:37], exec
	v_cmp_ge_u64_e32 vcc, v[10:11], v[26:27]
	s_orn2_b64 vcc, vcc, exec
	s_branch .LBB12_388
.LBB12_393:                             ;   in Loop: Header=BB12_77 Depth=1
	s_or_b64 exec, exec, s[36:37]
	s_and_saveexec_b64 vcc, s[38:39]
	s_xor_b64 vcc, exec, vcc
	s_cbranch_execz .LBB12_395
; %bb.394:                              ;   in Loop: Header=BB12_77 Depth=1
	ds_write_b32 v0, v116
	s_trap 2
.LBB12_395:                             ;   in Loop: Header=BB12_77 Depth=1
	s_or_b64 exec, exec, s[34:35]
	;;#ASMSTART
	s_wakeup
	;;#ASMEND
.LBB12_396:                             ;   in Loop: Header=BB12_77 Depth=1
	s_or_b64 exec, exec, s[30:31]
.LBB12_397:                             ;   in Loop: Header=BB12_77 Depth=1
	s_andn2_saveexec_b64 s[44:45], s[44:45]
	s_cbranch_execz .LBB12_399
; %bb.398:                              ;   in Loop: Header=BB12_77 Depth=1
	s_waitcnt lgkmcnt(0)
	s_barrier
.LBB12_399:                             ;   in Loop: Header=BB12_77 Depth=1
	s_or_b64 exec, exec, s[44:45]
	s_or_b64 exec, exec, s[42:43]
                                        ; implicit-def: $vgpr2
	s_and_saveexec_b64 s[42:43], s[24:25]
	s_xor_b64 s[42:43], exec, s[42:43]
	s_cbranch_execnz .LBB12_356
.LBB12_400:                             ;   in Loop: Header=BB12_77 Depth=1
	s_andn2_saveexec_b64 s[40:41], s[42:43]
	s_cbranch_execz .LBB12_359
.LBB12_401:                             ;   in Loop: Header=BB12_77 Depth=1
	s_and_saveexec_b64 s[42:43], s[60:61]
	s_xor_b64 s[42:43], exec, s[42:43]
	s_cbranch_execz .LBB12_471
; %bb.402:                              ;   in Loop: Header=BB12_77 Depth=1
	s_and_saveexec_b64 s[44:45], s[16:17]
	s_cbranch_execz .LBB12_470
; %bb.403:                              ;   in Loop: Header=BB12_77 Depth=1
	s_mov_b64 s[34:35], exec
	v_mbcnt_lo_u32_b32 v2, s34, 0
	v_mbcnt_hi_u32_b32 v2, s35, v2
	v_cmp_eq_u32_e32 vcc, 0, v2
	;;#ASMSTART
	s_waitcnt lgkmcnt(0) vmcnt(0)
	;;#ASMEND
	s_and_saveexec_b64 s[30:31], vcc
	s_cbranch_execz .LBB12_405
; %bb.404:                              ;   in Loop: Header=BB12_77 Depth=1
	s_bcnt1_i32_b64 vcc_lo, s[34:35]
	v_mov_b32_e32 v2, vcc_lo
	s_waitcnt lgkmcnt(0)
	ds_add_u64 v0, v[2:3]
	s_trap 2
.LBB12_405:                             ;   in Loop: Header=BB12_77 Depth=1
	s_or_b64 exec, exec, s[30:31]
	s_trap 2
	ds_read_b64 v[10:11], v0
	s_waitcnt lgkmcnt(0)
	v_lshl_add_u64 v[26:27], v[26:27], 0, v[34:35]
	v_cmp_lt_u64_e32 vcc, v[10:11], v[26:27]
	s_and_saveexec_b64 s[30:31], vcc
	s_cbranch_execz .LBB12_469
; %bb.406:                              ;   in Loop: Header=BB12_77 Depth=1
	s_mov_b32 s52, 0
	s_mov_b64 s[34:35], 0
                                        ; implicit-def: $sgpr36_sgpr37
                                        ; implicit-def: $sgpr38_sgpr39
	s_branch .LBB12_408
.LBB12_407:                             ;   in Loop: Header=BB12_408 Depth=2
	s_or_b64 exec, exec, s[50:51]
	s_and_b64 vcc, exec, vcc
	s_or_b64 s[34:35], vcc, s[34:35]
	s_andn2_b64 vcc, s[36:37], exec
	s_and_b64 s[36:37], s[38:39], exec
	s_or_b64 s[36:37], vcc, s[36:37]
	s_andn2_b64 exec, exec, s[34:35]
	s_cbranch_execz .LBB12_467
.LBB12_408:                             ;   Parent Loop BB12_77 Depth=1
                                        ; =>  This Inner Loop Header: Depth=2
	s_add_i32 s52, s52, 1
	s_cmpk_lg_i32 s52, 0x2710
	s_cselect_b64 s[48:49], -1, 0
	s_and_b64 vcc, exec, s[48:49]
	s_cbranch_vccz .LBB12_410
; %bb.409:                              ;   in Loop: Header=BB12_408 Depth=2
	s_mov_b64 vcc, -1
	s_or_b64 s[38:39], s[38:39], exec
	s_and_saveexec_b64 s[50:51], s[48:49]
	s_cbranch_execz .LBB12_407
	s_branch .LBB12_411
.LBB12_410:                             ;   in Loop: Header=BB12_408 Depth=2
	s_trap 2
	ds_read_b64 v[10:11], v0
	s_andn2_b64 s[48:49], s[48:49], exec
	s_mov_b32 s52, 0
	s_waitcnt vmcnt(0) lgkmcnt(0)
	flat_load_dword v2, v[10:11] sc0 sc1
	s_waitcnt vmcnt(0) lgkmcnt(0)
	buffer_inv sc0 sc1
	v_cmp_eq_u32_e32 vcc, 0, v2
	s_and_b64 vcc, vcc, exec
	s_or_b64 s[48:49], s[48:49], vcc
	s_mov_b64 vcc, -1
	s_or_b64 s[38:39], s[38:39], exec
	s_and_saveexec_b64 s[50:51], s[48:49]
	s_cbranch_execz .LBB12_407
.LBB12_411:                             ;   in Loop: Header=BB12_408 Depth=2
	s_sleep 1
	s_trap 2
	ds_read_b64 v[10:11], v0
	s_waitcnt lgkmcnt(0)
	s_andn2_b64 s[38:39], s[38:39], exec
	v_cmp_ge_u64_e32 vcc, v[10:11], v[26:27]
	s_orn2_b64 vcc, vcc, exec
	s_branch .LBB12_407
.LBB12_412:                             ;   in Loop: Header=BB12_77 Depth=1
	s_or_b64 exec, exec, s[30:31]
	s_and_saveexec_b64 vcc, s[34:35]
	s_xor_b64 vcc, exec, vcc
	s_cbranch_execz .LBB12_414
; %bb.413:                              ;   in Loop: Header=BB12_77 Depth=1
	ds_write_b32 v0, v116
	s_trap 2
.LBB12_414:                             ;   in Loop: Header=BB12_77 Depth=1
	s_or_b64 exec, exec, s[94:95]
	;;#ASMSTART
	s_wakeup
	;;#ASMEND
.LBB12_415:                             ;   in Loop: Header=BB12_77 Depth=1
	s_or_b64 exec, exec, s[44:45]
.LBB12_416:                             ;   in Loop: Header=BB12_77 Depth=1
	s_andn2_saveexec_b64 s[42:43], s[42:43]
	s_cbranch_execz .LBB12_418
; %bb.417:                              ;   in Loop: Header=BB12_77 Depth=1
	;;#ASMSTART
	s_waitcnt lgkmcnt(0) vmcnt(0)
	;;#ASMEND
	s_barrier
.LBB12_418:                             ;   in Loop: Header=BB12_77 Depth=1
	s_or_b64 exec, exec, s[42:43]
	v_and_b32_e32 v2, 16, v114
.LBB12_419:                             ;   in Loop: Header=BB12_77 Depth=1
	s_or_b64 exec, exec, s[40:41]
	v_cmp_ne_u32_e32 vcc, 0, v2
	s_xor_b64 s[40:41], s[12:13], -1
	s_and_b64 s[42:43], vcc, s[40:41]
	s_and_saveexec_b64 s[40:41], s[42:43]
	s_cbranch_execz .LBB12_421
; %bb.420:                              ;   in Loop: Header=BB12_77 Depth=1
	flat_store_dword v[28:29], v116 sc0 sc1
.LBB12_421:                             ;   in Loop: Header=BB12_77 Depth=1
	s_or_b64 exec, exec, s[40:41]
	v_and_b32_e32 v2, 48, v114
	v_cmp_ne_u32_e32 vcc, 0, v2
	s_and_saveexec_b64 s[40:41], vcc
	s_cbranch_execz .LBB12_423
; %bb.422:                              ;   in Loop: Header=BB12_77 Depth=1
	v_lshl_add_u64 v[8:9], v[8:9], 0, 1
	flat_store_dwordx2 v[20:21], v[8:9] sc0 sc1
.LBB12_423:                             ;   in Loop: Header=BB12_77 Depth=1
	s_or_b64 exec, exec, s[40:41]
	v_mov_b32_e32 v2, v84
.LBB12_424:                             ;   in Loop: Header=BB12_77 Depth=1
	s_or_b64 exec, exec, s[92:93]
	s_mov_b64 s[40:41], 0
	s_and_saveexec_b64 s[42:43], s[26:27]
	s_cbranch_execz .LBB12_565
; %bb.425:                              ;   in Loop: Header=BB12_77 Depth=1
	v_sub_u32_e32 v2, v42, v2
	v_min_i32_e32 v10, v84, v2
	v_and_b32_e32 v2, 12, v114
	v_cmp_ne_u32_e32 vcc, 0, v2
	s_and_saveexec_b64 s[44:45], vcc
	s_cbranch_execz .LBB12_435
; %bb.426:                              ;   in Loop: Header=BB12_77 Depth=1
	v_and_b32_e32 v2, 8, v114
	s_waitcnt vmcnt(0) lgkmcnt(0)
	v_lshl_add_u64 v[84:85], v[32:33], 0, v[2:3]
	v_lshl_add_u64 v[12:13], v[8:9], 0, 1
	v_cmp_lt_u64_e32 vcc, v[84:85], v[12:13]
	s_and_saveexec_b64 s[92:93], vcc
	s_cbranch_execz .LBB12_443
; %bb.427:                              ;   in Loop: Header=BB12_77 Depth=1
	v_and_b32_e32 v9, 64, v114
	s_mov_b32 s64, 0
	v_cmp_eq_u32_e32 vcc, 0, v9
	s_mov_b64 s[94:95], 0
                                        ; implicit-def: $sgpr30_sgpr31
                                        ; implicit-def: $sgpr34_sgpr35
                                        ; implicit-def: $sgpr36_sgpr37
	s_branch .LBB12_431
.LBB12_428:                             ;   in Loop: Header=BB12_431 Depth=2
	s_waitcnt vmcnt(0) lgkmcnt(0)
	v_lshl_add_u64 v[84:85], v[32:33], 0, v[2:3]
	v_cmp_ge_u64_e64 s[40:41], v[84:85], v[12:13]
	s_or_b64 s[50:51], s[50:51], exec
	s_orn2_b64 s[48:49], s[40:41], exec
.LBB12_429:                             ;   in Loop: Header=BB12_431 Depth=2
	s_or_b64 exec, exec, s[54:55]
	s_andn2_b64 s[40:41], s[36:37], exec
	s_and_b64 s[36:37], s[50:51], exec
	s_or_b64 s[36:37], s[40:41], s[36:37]
	s_andn2_b64 s[40:41], s[34:35], exec
	s_and_b64 s[34:35], s[48:49], exec
	s_or_b64 s[34:35], s[40:41], s[34:35]
.LBB12_430:                             ;   in Loop: Header=BB12_431 Depth=2
	s_or_b64 exec, exec, s[38:39]
	s_and_b64 s[40:41], exec, s[34:35]
	s_or_b64 s[94:95], s[40:41], s[94:95]
	s_andn2_b64 s[40:41], s[30:31], exec
	s_and_b64 s[30:31], s[36:37], exec
	s_or_b64 s[30:31], s[40:41], s[30:31]
	s_andn2_b64 exec, exec, s[94:95]
	s_cbranch_execz .LBB12_440
.LBB12_431:                             ;   Parent Loop BB12_77 Depth=1
                                        ; =>  This Inner Loop Header: Depth=2
	s_sleep 1
	s_waitcnt vmcnt(0) lgkmcnt(0)
	flat_load_dwordx2 v[32:33], v[20:21] sc0 sc1
	s_or_b64 s[36:37], s[36:37], exec
	s_or_b64 s[34:35], s[34:35], exec
                                        ; implicit-def: $vgpr9
	s_and_saveexec_b64 s[38:39], vcc
	s_cbranch_execz .LBB12_430
; %bb.432:                              ;   in Loop: Header=BB12_431 Depth=2
	s_cmpk_lt_i32 s64, 0x270f
	s_cselect_b64 s[52:53], -1, 0
	s_cmpk_gt_i32 s64, 0x270e
	s_mov_b64 s[48:49], -1
	s_cbranch_scc0 .LBB12_434
; %bb.433:                              ;   in Loop: Header=BB12_431 Depth=2
	s_trap 2
	ds_read_b64 v[84:85], v0
	s_andn2_b64 s[52:53], s[52:53], exec
	s_mov_b32 s64, 0
	s_mov_b64 s[50:51], 0
	s_waitcnt vmcnt(0) lgkmcnt(0)
	flat_load_dword v9, v[84:85] sc0 sc1
	s_waitcnt vmcnt(0) lgkmcnt(0)
	buffer_inv sc0 sc1
	v_cmp_eq_u32_e64 s[40:41], 0, v9
	s_and_b64 s[40:41], s[40:41], exec
	s_or_b64 s[52:53], s[52:53], s[40:41]
	s_and_saveexec_b64 s[54:55], s[52:53]
	s_cbranch_execz .LBB12_429
	s_branch .LBB12_428
.LBB12_434:                             ;   in Loop: Header=BB12_431 Depth=2
	s_add_i32 s64, s64, 1
	s_mov_b64 s[50:51], -1
                                        ; implicit-def: $vgpr9
	s_and_saveexec_b64 s[54:55], s[52:53]
	s_cbranch_execz .LBB12_429
	s_branch .LBB12_428
.LBB12_435:                             ;   in Loop: Header=BB12_77 Depth=1
	s_or_b64 exec, exec, s[44:45]
	s_and_saveexec_b64 s[40:41], s[10:11]
	s_cbranch_execnz .LBB12_456
.LBB12_436:                             ;   in Loop: Header=BB12_77 Depth=1
	s_or_b64 exec, exec, s[40:41]
                                        ; implicit-def: $vgpr2
	s_and_saveexec_b64 s[40:41], s[24:25]
	s_xor_b64 s[40:41], exec, s[40:41]
	s_cbranch_execz .LBB12_524
.LBB12_437:                             ;   in Loop: Header=BB12_77 Depth=1
	s_trap 2
	ds_read_b32 v11, v0
	v_cmp_lt_i32_e32 vcc, 0, v10
	v_and_b32_e32 v10, 16, v114
	v_and_b32_e32 v2, 16, v114
	s_waitcnt lgkmcnt(0)
	v_readfirstlane_b32 s44, v11
	s_cmp_eq_u32 s44, 0
	s_cselect_b64 s[44:45], -1, 0
	s_and_b64 s[44:45], vcc, s[44:45]
	v_cmp_ne_u32_e32 vcc, 0, v10
	s_and_b64 s[92:93], vcc, s[44:45]
	s_and_saveexec_b64 s[44:45], s[92:93]
	s_cbranch_execz .LBB12_439
; %bb.438:                              ;   in Loop: Header=BB12_77 Depth=1
	v_mov_b32_e32 v2, 1
	buffer_wbl2 sc1
	s_waitcnt vmcnt(0)
	buffer_inv sc1
.LBB12_439:                             ;   in Loop: Header=BB12_77 Depth=1
	s_or_b64 exec, exec, s[44:45]
	s_andn2_saveexec_b64 s[40:41], s[40:41]
	s_cbranch_execz .LBB12_562
	s_branch .LBB12_525
.LBB12_440:                             ;   in Loop: Header=BB12_77 Depth=1
	s_or_b64 exec, exec, s[94:95]
	s_xor_b64 s[40:41], s[30:31], -1
	s_and_saveexec_b64 s[94:95], s[40:41]
	s_xor_b64 s[40:41], exec, s[94:95]
	s_cbranch_execz .LBB12_442
; %bb.441:                              ;   in Loop: Header=BB12_77 Depth=1
	v_or_b32_e32 v114, 64, v114
	s_waitcnt lgkmcnt(0)
	ds_write_b32 v0, v9
	s_trap 2
.LBB12_442:                             ;   in Loop: Header=BB12_77 Depth=1
	s_or_b64 exec, exec, s[40:41]
.LBB12_443:                             ;   in Loop: Header=BB12_77 Depth=1
	s_or_b64 exec, exec, s[92:93]
	v_and_b32_e32 v9, 0x108, v114
	v_cmp_ne_u32_e32 vcc, s70, v9
	;;#ASMSTART
	s_wakeup
	;;#ASMEND
                                        ; implicit-def: $vgpr84_vgpr85
	s_and_saveexec_b64 s[40:41], vcc
	s_xor_b64 s[40:41], exec, s[40:41]
; %bb.444:                              ;   in Loop: Header=BB12_77 Depth=1
	v_and_b32_e32 v84, 7, v8
	v_mov_b32_e32 v85, v3
; %bb.445:                              ;   in Loop: Header=BB12_77 Depth=1
	s_andn2_saveexec_b64 s[40:41], s[40:41]
	s_cbranch_execz .LBB12_447
; %bb.446:                              ;   in Loop: Header=BB12_77 Depth=1
	v_and_b32_e32 v84, 7, v8
	v_mov_b32_e32 v85, v3
	v_mad_u64_u32 v[8:9], s[92:93], v84, 24, v[6:7]
	v_ashrrev_i32_e32 v11, 31, v10
	flat_store_dwordx2 v[8:9], v[10:11] offset:8
.LBB12_447:                             ;   in Loop: Header=BB12_77 Depth=1
	s_or_b64 exec, exec, s[40:41]
	v_and_b32_e32 v8, 0x100, v114
	v_cmp_ne_u32_e32 vcc, 0, v8
	s_mov_b64 s[40:41], -1
                                        ; implicit-def: $vgpr8_vgpr9
	s_and_saveexec_b64 s[92:93], vcc
	s_cbranch_execz .LBB12_451
; %bb.448:                              ;   in Loop: Header=BB12_77 Depth=1
	v_mad_u64_u32 v[86:87], s[40:41], v84, 24, v[6:7]
	v_mov_b32_e32 v8, v87
	v_mad_u64_u32 v[8:9], s[40:41], v85, 24, v[8:9]
	v_mov_b32_e32 v87, v8
	flat_load_dword v8, v[86:87]
	s_waitcnt vmcnt(0) lgkmcnt(0)
	v_cmp_ne_u32_e32 vcc, 1, v8
	v_cmp_eq_u32_e64 s[40:41], 1, v8
                                        ; implicit-def: $vgpr8_vgpr9
	s_and_saveexec_b64 s[94:95], s[40:41]
	s_cbranch_execz .LBB12_450
; %bb.449:                              ;   in Loop: Header=BB12_77 Depth=1
	flat_load_dword v8, v[86:87] offset:4 sc0 sc1
	s_waitcnt vmcnt(0) lgkmcnt(0)
	v_ashrrev_i32_e32 v9, 31, v8
.LBB12_450:                             ;   in Loop: Header=BB12_77 Depth=1
	s_or_b64 exec, exec, s[94:95]
	s_orn2_b64 s[40:41], vcc, exec
.LBB12_451:                             ;   in Loop: Header=BB12_77 Depth=1
	s_or_b64 exec, exec, s[92:93]
	s_and_saveexec_b64 s[92:93], s[40:41]
; %bb.452:                              ;   in Loop: Header=BB12_77 Depth=1
	v_mul_lo_u32 v11, v85, v22
	v_mul_lo_u32 v85, v84, v1
	v_mad_u64_u32 v[8:9], s[40:41], v84, v22, 0
	v_add3_u32 v9, v9, v85, v11
; %bb.453:                              ;   in Loop: Header=BB12_77 Depth=1
	s_or_b64 exec, exec, s[92:93]
	v_cmp_eq_u32_e32 vcc, 0, v2
	v_lshl_add_u64 v[8:9], v[24:25], 0, v[8:9]
	s_nop 0
	v_cndmask_b32_e32 v2, v117, v118, vcc
	v_add_u32_e32 v2, v0, v2
	ds_write_b64 v2, v[8:9] offset:584
	v_and_b32_e32 v2, 0x2000, v114
	v_cmp_ne_u32_e32 vcc, 0, v2
	s_and_saveexec_b64 s[40:41], vcc
	s_cbranch_execz .LBB12_455
; %bb.454:                              ;   in Loop: Header=BB12_77 Depth=1
	ds_read_b64 v[8:9], v0 offset:872
	s_waitcnt lgkmcnt(0)
	v_lshl_add_u64 v[8:9], v[8:9], 0, 1
	ds_write_b64 v0, v[8:9] offset:872
.LBB12_455:                             ;   in Loop: Header=BB12_77 Depth=1
	s_or_b64 exec, exec, s[40:41]
	v_mov_b64_e32 v[8:9], v[12:13]
	s_or_b64 exec, exec, s[44:45]
	s_and_saveexec_b64 s[40:41], s[10:11]
	s_cbranch_execz .LBB12_436
.LBB12_456:                             ;   in Loop: Header=BB12_77 Depth=1
	s_and_saveexec_b64 s[44:45], s[60:61]
	s_xor_b64 s[44:45], exec, s[44:45]
	s_cbranch_execz .LBB12_521
; %bb.457:                              ;   in Loop: Header=BB12_77 Depth=1
	s_and_saveexec_b64 s[92:93], s[16:17]
	s_cbranch_execz .LBB12_520
; %bb.458:                              ;   in Loop: Header=BB12_77 Depth=1
	s_mov_b64 s[30:31], exec
	v_mbcnt_lo_u32_b32 v2, s30, 0
	v_mbcnt_hi_u32_b32 v2, s31, v2
	v_cmp_eq_u32_e32 vcc, 0, v2
	s_waitcnt lgkmcnt(0)
	s_and_saveexec_b64 s[94:95], vcc
	s_cbranch_execz .LBB12_460
; %bb.459:                              ;   in Loop: Header=BB12_77 Depth=1
	s_bcnt1_i32_b64 vcc_lo, s[30:31]
	v_mov_b32_e32 v2, vcc_lo
	ds_add_u64 v0, v[2:3]
	s_trap 2
.LBB12_460:                             ;   in Loop: Header=BB12_77 Depth=1
	s_or_b64 exec, exec, s[94:95]
	s_trap 2
	ds_read_b64 v[12:13], v0
	s_waitcnt lgkmcnt(0)
	v_lshl_add_u64 v[26:27], v[26:27], 0, v[34:35]
	v_cmp_lt_u64_e32 vcc, v[12:13], v[26:27]
	s_and_saveexec_b64 s[94:95], vcc
	s_cbranch_execz .LBB12_519
; %bb.461:                              ;   in Loop: Header=BB12_77 Depth=1
	s_mov_b32 s50, 0
	s_mov_b64 s[30:31], 0
                                        ; implicit-def: $sgpr34_sgpr35
                                        ; implicit-def: $sgpr36_sgpr37
	s_branch .LBB12_463
.LBB12_462:                             ;   in Loop: Header=BB12_463 Depth=2
	s_or_b64 exec, exec, s[48:49]
	s_and_b64 vcc, exec, vcc
	s_or_b64 s[30:31], vcc, s[30:31]
	s_andn2_b64 vcc, s[34:35], exec
	s_and_b64 s[34:35], s[36:37], exec
	s_or_b64 s[34:35], vcc, s[34:35]
	s_andn2_b64 exec, exec, s[30:31]
	s_cbranch_execz .LBB12_517
.LBB12_463:                             ;   Parent Loop BB12_77 Depth=1
                                        ; =>  This Inner Loop Header: Depth=2
	s_add_i32 s50, s50, 1
	s_cmpk_lg_i32 s50, 0x2710
	s_cselect_b64 s[38:39], -1, 0
	s_and_b64 vcc, exec, s[38:39]
	s_cbranch_vccz .LBB12_465
; %bb.464:                              ;   in Loop: Header=BB12_463 Depth=2
	s_mov_b64 vcc, -1
	s_or_b64 s[36:37], s[36:37], exec
	s_and_saveexec_b64 s[48:49], s[38:39]
	s_cbranch_execz .LBB12_462
	s_branch .LBB12_466
.LBB12_465:                             ;   in Loop: Header=BB12_463 Depth=2
	s_trap 2
	ds_read_b64 v[12:13], v0
	s_andn2_b64 s[38:39], s[38:39], exec
	s_mov_b32 s50, 0
	s_waitcnt vmcnt(0) lgkmcnt(0)
	flat_load_dword v2, v[12:13] sc0 sc1
	s_waitcnt vmcnt(0) lgkmcnt(0)
	buffer_inv sc0 sc1
	v_cmp_eq_u32_e32 vcc, 0, v2
	s_and_b64 vcc, vcc, exec
	s_or_b64 s[38:39], s[38:39], vcc
	s_mov_b64 vcc, -1
	s_or_b64 s[36:37], s[36:37], exec
	s_and_saveexec_b64 s[48:49], s[38:39]
	s_cbranch_execz .LBB12_462
.LBB12_466:                             ;   in Loop: Header=BB12_463 Depth=2
	s_sleep 1
	s_trap 2
	ds_read_b64 v[12:13], v0
	s_waitcnt lgkmcnt(0)
	s_andn2_b64 s[36:37], s[36:37], exec
	v_cmp_ge_u64_e32 vcc, v[12:13], v[26:27]
	s_orn2_b64 vcc, vcc, exec
	s_branch .LBB12_462
.LBB12_467:                             ;   in Loop: Header=BB12_77 Depth=1
	s_or_b64 exec, exec, s[34:35]
	s_and_saveexec_b64 vcc, s[36:37]
	s_xor_b64 vcc, exec, vcc
	s_cbranch_execz .LBB12_469
; %bb.468:                              ;   in Loop: Header=BB12_77 Depth=1
	ds_write_b32 v0, v116
	s_trap 2
.LBB12_469:                             ;   in Loop: Header=BB12_77 Depth=1
	s_or_b64 exec, exec, s[30:31]
	;;#ASMSTART
	s_wakeup
	;;#ASMEND
.LBB12_470:                             ;   in Loop: Header=BB12_77 Depth=1
	s_or_b64 exec, exec, s[44:45]
.LBB12_471:                             ;   in Loop: Header=BB12_77 Depth=1
	s_andn2_saveexec_b64 s[42:43], s[42:43]
	s_cbranch_execz .LBB12_473
; %bb.472:                              ;   in Loop: Header=BB12_77 Depth=1
	;;#ASMSTART
	s_waitcnt lgkmcnt(0) vmcnt(0)
	;;#ASMEND
	s_barrier
.LBB12_473:                             ;   in Loop: Header=BB12_77 Depth=1
	s_or_b64 exec, exec, s[42:43]
	v_and_b32_e32 v2, 16, v114
	s_or_b64 exec, exec, s[40:41]
	v_cmp_ne_u32_e32 vcc, 0, v2
	s_and_saveexec_b64 s[40:41], vcc
	s_cbranch_execz .LBB12_477
.LBB12_474:                             ;   in Loop: Header=BB12_77 Depth=1
	s_and_saveexec_b64 s[42:43], s[14:15]
	s_cbranch_execz .LBB12_476
; %bb.475:                              ;   in Loop: Header=BB12_77 Depth=1
	flat_store_dword v[28:29], v116 sc0 sc1
.LBB12_476:                             ;   in Loop: Header=BB12_77 Depth=1
	s_or_b64 exec, exec, s[42:43]
	v_lshl_add_u64 v[8:9], v[8:9], 0, 1
	flat_store_dwordx2 v[20:21], v[8:9] sc0 sc1
.LBB12_477:                             ;   in Loop: Header=BB12_77 Depth=1
	s_or_b64 exec, exec, s[40:41]
	v_mov_b32_e32 v2, v84
.LBB12_478:                             ;   in Loop: Header=BB12_77 Depth=1
	s_or_b64 exec, exec, s[94:95]
	s_mov_b64 s[44:45], 0
	s_mov_b64 s[40:41], s[88:89]
	s_and_saveexec_b64 s[42:43], s[26:27]
	s_cbranch_execz .LBB12_614
; %bb.479:                              ;   in Loop: Header=BB12_77 Depth=1
	v_sub_u32_e32 v2, v42, v2
	v_min_i32_e32 v10, v84, v2
	v_and_b32_e32 v2, 8, v114
	v_cmp_ne_u32_e32 vcc, 0, v2
	s_and_saveexec_b64 s[44:45], vcc
	s_cbranch_execz .LBB12_489
; %bb.480:                              ;   in Loop: Header=BB12_77 Depth=1
	s_waitcnt vmcnt(0) lgkmcnt(0)
	v_lshl_add_u64 v[84:85], v[32:33], 0, 8
	v_lshl_add_u64 v[12:13], v[8:9], 0, 1
	v_cmp_lt_u64_e32 vcc, v[84:85], v[12:13]
	s_and_saveexec_b64 s[94:95], vcc
	s_cbranch_execz .LBB12_497
; %bb.481:                              ;   in Loop: Header=BB12_77 Depth=1
	v_and_b32_e32 v2, 64, v114
	s_mov_b32 s66, 0
	v_cmp_eq_u32_e32 vcc, 0, v2
	s_mov_b64 s[30:31], 0
                                        ; implicit-def: $sgpr34_sgpr35
                                        ; implicit-def: $sgpr36_sgpr37
                                        ; implicit-def: $sgpr38_sgpr39
	s_branch .LBB12_485
.LBB12_482:                             ;   in Loop: Header=BB12_485 Depth=2
	s_waitcnt vmcnt(0) lgkmcnt(0)
	v_lshl_add_u64 v[84:85], v[32:33], 0, 8
	v_cmp_ge_u64_e64 s[40:41], v[84:85], v[12:13]
	s_or_b64 s[52:53], s[52:53], exec
	s_orn2_b64 s[50:51], s[40:41], exec
.LBB12_483:                             ;   in Loop: Header=BB12_485 Depth=2
	s_or_b64 exec, exec, s[64:65]
	s_andn2_b64 s[40:41], s[38:39], exec
	s_and_b64 s[38:39], s[52:53], exec
	s_or_b64 s[38:39], s[40:41], s[38:39]
	s_andn2_b64 s[40:41], s[36:37], exec
	s_and_b64 s[36:37], s[50:51], exec
	s_or_b64 s[36:37], s[40:41], s[36:37]
.LBB12_484:                             ;   in Loop: Header=BB12_485 Depth=2
	s_or_b64 exec, exec, s[48:49]
	s_and_b64 s[40:41], exec, s[36:37]
	s_or_b64 s[30:31], s[40:41], s[30:31]
	s_andn2_b64 s[40:41], s[34:35], exec
	s_and_b64 s[34:35], s[38:39], exec
	s_or_b64 s[34:35], s[40:41], s[34:35]
	s_andn2_b64 exec, exec, s[30:31]
	s_cbranch_execz .LBB12_494
.LBB12_485:                             ;   Parent Loop BB12_77 Depth=1
                                        ; =>  This Inner Loop Header: Depth=2
	s_sleep 1
	s_waitcnt vmcnt(0) lgkmcnt(0)
	flat_load_dwordx2 v[32:33], v[20:21] sc0 sc1
	s_or_b64 s[38:39], s[38:39], exec
	s_or_b64 s[36:37], s[36:37], exec
                                        ; implicit-def: $vgpr2
	s_and_saveexec_b64 s[48:49], vcc
	s_cbranch_execz .LBB12_484
; %bb.486:                              ;   in Loop: Header=BB12_485 Depth=2
	s_cmpk_lt_i32 s66, 0x270f
	s_cselect_b64 s[54:55], -1, 0
	s_cmpk_gt_i32 s66, 0x270e
	s_mov_b64 s[50:51], -1
	s_cbranch_scc0 .LBB12_488
; %bb.487:                              ;   in Loop: Header=BB12_485 Depth=2
	s_trap 2
	ds_read_b64 v[84:85], v0
	s_andn2_b64 s[54:55], s[54:55], exec
	s_mov_b32 s66, 0
	s_mov_b64 s[52:53], 0
	s_waitcnt vmcnt(0) lgkmcnt(0)
	flat_load_dword v2, v[84:85] sc0 sc1
	s_waitcnt vmcnt(0) lgkmcnt(0)
	buffer_inv sc0 sc1
	v_cmp_eq_u32_e64 s[40:41], 0, v2
	s_and_b64 s[40:41], s[40:41], exec
	s_or_b64 s[54:55], s[54:55], s[40:41]
	s_and_saveexec_b64 s[64:65], s[54:55]
	s_cbranch_execz .LBB12_483
	s_branch .LBB12_482
.LBB12_488:                             ;   in Loop: Header=BB12_485 Depth=2
	s_add_i32 s66, s66, 1
	s_mov_b64 s[52:53], -1
                                        ; implicit-def: $vgpr2
	s_and_saveexec_b64 s[64:65], s[54:55]
	s_cbranch_execz .LBB12_483
	s_branch .LBB12_482
.LBB12_489:                             ;   in Loop: Header=BB12_77 Depth=1
	s_or_b64 exec, exec, s[44:45]
	s_and_saveexec_b64 s[40:41], s[10:11]
	s_cbranch_execnz .LBB12_506
.LBB12_490:                             ;   in Loop: Header=BB12_77 Depth=1
	s_or_b64 exec, exec, s[40:41]
                                        ; implicit-def: $vgpr2
	s_and_saveexec_b64 s[40:41], s[24:25]
	s_xor_b64 s[40:41], exec, s[40:41]
	s_cbranch_execz .LBB12_543
.LBB12_491:                             ;   in Loop: Header=BB12_77 Depth=1
	s_trap 2
	ds_read_b32 v11, v0
	v_cmp_lt_i32_e32 vcc, 0, v10
	v_and_b32_e32 v10, 16, v114
	v_and_b32_e32 v2, 16, v114
	s_waitcnt lgkmcnt(0)
	v_readfirstlane_b32 s44, v11
	s_cmp_eq_u32 s44, 0
	s_cselect_b64 s[44:45], -1, 0
	s_and_b64 s[44:45], vcc, s[44:45]
	v_cmp_ne_u32_e32 vcc, 0, v10
	s_and_b64 s[94:95], vcc, s[44:45]
	s_and_saveexec_b64 s[44:45], s[94:95]
	s_cbranch_execz .LBB12_493
; %bb.492:                              ;   in Loop: Header=BB12_77 Depth=1
	v_mov_b32_e32 v2, 1
	buffer_wbl2 sc1
	s_waitcnt vmcnt(0)
	buffer_inv sc1
.LBB12_493:                             ;   in Loop: Header=BB12_77 Depth=1
	s_or_b64 exec, exec, s[44:45]
	s_andn2_saveexec_b64 s[40:41], s[40:41]
	s_cbranch_execz .LBB12_611
	s_branch .LBB12_544
.LBB12_494:                             ;   in Loop: Header=BB12_77 Depth=1
	s_or_b64 exec, exec, s[30:31]
	s_xor_b64 s[40:41], s[34:35], -1
	s_and_saveexec_b64 vcc, s[40:41]
	s_xor_b64 s[40:41], exec, vcc
	s_cbranch_execz .LBB12_496
; %bb.495:                              ;   in Loop: Header=BB12_77 Depth=1
	v_or_b32_e32 v114, 64, v114
	s_waitcnt lgkmcnt(0)
	ds_write_b32 v0, v2
	s_trap 2
.LBB12_496:                             ;   in Loop: Header=BB12_77 Depth=1
	s_or_b64 exec, exec, s[40:41]
.LBB12_497:                             ;   in Loop: Header=BB12_77 Depth=1
	s_or_b64 exec, exec, s[94:95]
	v_and_b32_e32 v2, 0x100, v114
	v_cmp_ne_u32_e32 vcc, 0, v2
	v_and_b32_e32 v2, 7, v8
	s_mov_b64 s[40:41], -1
	;;#ASMSTART
	s_wakeup
	;;#ASMEND
                                        ; implicit-def: $vgpr8_vgpr9
	s_and_saveexec_b64 s[94:95], vcc
	s_cbranch_execz .LBB12_501
; %bb.498:                              ;   in Loop: Header=BB12_77 Depth=1
	v_mad_u64_u32 v[84:85], s[40:41], v2, 24, v[6:7]
	flat_load_dword v8, v[84:85]
	v_ashrrev_i32_e32 v11, 31, v10
	flat_store_dwordx2 v[84:85], v[10:11] offset:8
	s_waitcnt vmcnt(0) lgkmcnt(0)
	v_cmp_ne_u32_e32 vcc, 1, v8
	v_cmp_eq_u32_e64 s[40:41], 1, v8
                                        ; implicit-def: $vgpr8_vgpr9
	s_and_saveexec_b64 s[30:31], s[40:41]
	s_cbranch_execz .LBB12_500
; %bb.499:                              ;   in Loop: Header=BB12_77 Depth=1
	flat_load_dword v8, v[84:85] offset:4 sc0 sc1
	s_waitcnt vmcnt(0) lgkmcnt(0)
	v_ashrrev_i32_e32 v9, 31, v8
.LBB12_500:                             ;   in Loop: Header=BB12_77 Depth=1
	s_or_b64 exec, exec, s[30:31]
	s_orn2_b64 s[40:41], vcc, exec
.LBB12_501:                             ;   in Loop: Header=BB12_77 Depth=1
	s_or_b64 exec, exec, s[94:95]
	s_and_saveexec_b64 s[94:95], s[40:41]
; %bb.502:                              ;   in Loop: Header=BB12_77 Depth=1
	v_mad_i64_i32 v[8:9], s[40:41], v2, v22, 0
; %bb.503:                              ;   in Loop: Header=BB12_77 Depth=1
	s_or_b64 exec, exec, s[94:95]
	v_and_b32_e32 v2, 0x2000, v114
	v_lshl_add_u64 v[8:9], v[24:25], 0, v[8:9]
	v_cmp_ne_u32_e32 vcc, 0, v2
	ds_write_b64 v0, v[8:9] offset:792
	s_and_saveexec_b64 s[40:41], vcc
	s_cbranch_execz .LBB12_505
; %bb.504:                              ;   in Loop: Header=BB12_77 Depth=1
	ds_read_b64 v[8:9], v0 offset:872
	s_waitcnt lgkmcnt(0)
	v_lshl_add_u64 v[8:9], v[8:9], 0, 1
	ds_write_b64 v0, v[8:9] offset:872
.LBB12_505:                             ;   in Loop: Header=BB12_77 Depth=1
	s_or_b64 exec, exec, s[40:41]
	v_mov_b64_e32 v[8:9], v[12:13]
	s_or_b64 exec, exec, s[44:45]
	s_and_saveexec_b64 s[40:41], s[10:11]
	s_cbranch_execz .LBB12_490
.LBB12_506:                             ;   in Loop: Header=BB12_77 Depth=1
	s_and_saveexec_b64 s[44:45], s[60:61]
	s_xor_b64 s[44:45], exec, s[44:45]
	s_cbranch_execz .LBB12_540
; %bb.507:                              ;   in Loop: Header=BB12_77 Depth=1
	s_and_saveexec_b64 s[94:95], s[16:17]
	s_cbranch_execz .LBB12_539
; %bb.508:                              ;   in Loop: Header=BB12_77 Depth=1
	s_mov_b64 s[34:35], exec
	v_mbcnt_lo_u32_b32 v2, s34, 0
	v_mbcnt_hi_u32_b32 v2, s35, v2
	v_cmp_eq_u32_e32 vcc, 0, v2
	s_waitcnt lgkmcnt(0)
	s_and_saveexec_b64 s[30:31], vcc
	s_cbranch_execz .LBB12_510
; %bb.509:                              ;   in Loop: Header=BB12_77 Depth=1
	s_bcnt1_i32_b64 vcc_lo, s[34:35]
	v_mov_b32_e32 v2, vcc_lo
	ds_add_u64 v0, v[2:3]
	s_trap 2
.LBB12_510:                             ;   in Loop: Header=BB12_77 Depth=1
	s_or_b64 exec, exec, s[30:31]
	s_trap 2
	ds_read_b64 v[12:13], v0
	s_waitcnt lgkmcnt(0)
	v_lshl_add_u64 v[26:27], v[26:27], 0, v[34:35]
	v_cmp_lt_u64_e32 vcc, v[12:13], v[26:27]
	s_and_saveexec_b64 s[30:31], vcc
	s_cbranch_execz .LBB12_538
; %bb.511:                              ;   in Loop: Header=BB12_77 Depth=1
	s_mov_b32 s52, 0
	s_mov_b64 s[34:35], 0
                                        ; implicit-def: $sgpr36_sgpr37
                                        ; implicit-def: $sgpr38_sgpr39
	s_branch .LBB12_513
.LBB12_512:                             ;   in Loop: Header=BB12_513 Depth=2
	s_or_b64 exec, exec, s[50:51]
	s_and_b64 vcc, exec, vcc
	s_or_b64 s[34:35], vcc, s[34:35]
	s_andn2_b64 vcc, s[36:37], exec
	s_and_b64 s[36:37], s[38:39], exec
	s_or_b64 s[36:37], vcc, s[36:37]
	s_andn2_b64 exec, exec, s[34:35]
	s_cbranch_execz .LBB12_536
.LBB12_513:                             ;   Parent Loop BB12_77 Depth=1
                                        ; =>  This Inner Loop Header: Depth=2
	s_add_i32 s52, s52, 1
	s_cmpk_lg_i32 s52, 0x2710
	s_cselect_b64 s[48:49], -1, 0
	s_and_b64 vcc, exec, s[48:49]
	s_cbranch_vccz .LBB12_515
; %bb.514:                              ;   in Loop: Header=BB12_513 Depth=2
	s_mov_b64 vcc, -1
	s_or_b64 s[38:39], s[38:39], exec
	s_and_saveexec_b64 s[50:51], s[48:49]
	s_cbranch_execz .LBB12_512
	s_branch .LBB12_516
.LBB12_515:                             ;   in Loop: Header=BB12_513 Depth=2
	s_trap 2
	ds_read_b64 v[12:13], v0
	s_andn2_b64 s[48:49], s[48:49], exec
	s_mov_b32 s52, 0
	s_waitcnt vmcnt(0) lgkmcnt(0)
	flat_load_dword v2, v[12:13] sc0 sc1
	s_waitcnt vmcnt(0) lgkmcnt(0)
	buffer_inv sc0 sc1
	v_cmp_eq_u32_e32 vcc, 0, v2
	s_and_b64 vcc, vcc, exec
	s_or_b64 s[48:49], s[48:49], vcc
	s_mov_b64 vcc, -1
	s_or_b64 s[38:39], s[38:39], exec
	s_and_saveexec_b64 s[50:51], s[48:49]
	s_cbranch_execz .LBB12_512
.LBB12_516:                             ;   in Loop: Header=BB12_513 Depth=2
	s_sleep 1
	s_trap 2
	ds_read_b64 v[12:13], v0
	s_waitcnt lgkmcnt(0)
	s_andn2_b64 s[38:39], s[38:39], exec
	v_cmp_ge_u64_e32 vcc, v[12:13], v[26:27]
	s_orn2_b64 vcc, vcc, exec
	s_branch .LBB12_512
.LBB12_517:                             ;   in Loop: Header=BB12_77 Depth=1
	s_or_b64 exec, exec, s[30:31]
	s_and_saveexec_b64 vcc, s[34:35]
	s_xor_b64 vcc, exec, vcc
	s_cbranch_execz .LBB12_519
; %bb.518:                              ;   in Loop: Header=BB12_77 Depth=1
	ds_write_b32 v0, v116
	s_trap 2
.LBB12_519:                             ;   in Loop: Header=BB12_77 Depth=1
	s_or_b64 exec, exec, s[94:95]
	;;#ASMSTART
	s_wakeup
	;;#ASMEND
.LBB12_520:                             ;   in Loop: Header=BB12_77 Depth=1
	s_or_b64 exec, exec, s[92:93]
.LBB12_521:                             ;   in Loop: Header=BB12_77 Depth=1
	s_andn2_saveexec_b64 s[44:45], s[44:45]
	s_cbranch_execz .LBB12_523
; %bb.522:                              ;   in Loop: Header=BB12_77 Depth=1
	s_waitcnt lgkmcnt(0)
	s_barrier
.LBB12_523:                             ;   in Loop: Header=BB12_77 Depth=1
	s_or_b64 exec, exec, s[44:45]
	s_or_b64 exec, exec, s[40:41]
                                        ; implicit-def: $vgpr2
	s_and_saveexec_b64 s[40:41], s[24:25]
	s_xor_b64 s[40:41], exec, s[40:41]
	s_cbranch_execnz .LBB12_437
.LBB12_524:                             ;   in Loop: Header=BB12_77 Depth=1
	s_andn2_saveexec_b64 s[40:41], s[40:41]
	s_cbranch_execz .LBB12_562
.LBB12_525:                             ;   in Loop: Header=BB12_77 Depth=1
	s_and_saveexec_b64 s[44:45], s[60:61]
	s_xor_b64 s[44:45], exec, s[44:45]
	s_cbranch_execz .LBB12_559
; %bb.526:                              ;   in Loop: Header=BB12_77 Depth=1
	s_and_saveexec_b64 s[92:93], s[16:17]
	s_cbranch_execz .LBB12_558
; %bb.527:                              ;   in Loop: Header=BB12_77 Depth=1
	s_mov_b64 s[30:31], exec
	v_mbcnt_lo_u32_b32 v2, s30, 0
	v_mbcnt_hi_u32_b32 v2, s31, v2
	v_cmp_eq_u32_e32 vcc, 0, v2
	;;#ASMSTART
	s_waitcnt lgkmcnt(0) vmcnt(0)
	;;#ASMEND
	s_and_saveexec_b64 s[94:95], vcc
	s_cbranch_execz .LBB12_529
; %bb.528:                              ;   in Loop: Header=BB12_77 Depth=1
	s_bcnt1_i32_b64 vcc_lo, s[30:31]
	v_mov_b32_e32 v2, vcc_lo
	s_waitcnt lgkmcnt(0)
	ds_add_u64 v0, v[2:3]
	s_trap 2
.LBB12_529:                             ;   in Loop: Header=BB12_77 Depth=1
	s_or_b64 exec, exec, s[94:95]
	s_trap 2
	ds_read_b64 v[10:11], v0
	s_waitcnt lgkmcnt(0)
	v_lshl_add_u64 v[26:27], v[26:27], 0, v[34:35]
	v_cmp_lt_u64_e32 vcc, v[10:11], v[26:27]
	s_and_saveexec_b64 s[94:95], vcc
	s_cbranch_execz .LBB12_557
; %bb.530:                              ;   in Loop: Header=BB12_77 Depth=1
	s_mov_b32 s50, 0
	s_mov_b64 s[30:31], 0
                                        ; implicit-def: $sgpr34_sgpr35
                                        ; implicit-def: $sgpr36_sgpr37
	s_branch .LBB12_532
.LBB12_531:                             ;   in Loop: Header=BB12_532 Depth=2
	s_or_b64 exec, exec, s[48:49]
	s_and_b64 vcc, exec, vcc
	s_or_b64 s[30:31], vcc, s[30:31]
	s_andn2_b64 vcc, s[34:35], exec
	s_and_b64 s[34:35], s[36:37], exec
	s_or_b64 s[34:35], vcc, s[34:35]
	s_andn2_b64 exec, exec, s[30:31]
	s_cbranch_execz .LBB12_555
.LBB12_532:                             ;   Parent Loop BB12_77 Depth=1
                                        ; =>  This Inner Loop Header: Depth=2
	s_add_i32 s50, s50, 1
	s_cmpk_lg_i32 s50, 0x2710
	s_cselect_b64 s[38:39], -1, 0
	s_and_b64 vcc, exec, s[38:39]
	s_cbranch_vccz .LBB12_534
; %bb.533:                              ;   in Loop: Header=BB12_532 Depth=2
	s_mov_b64 vcc, -1
	s_or_b64 s[36:37], s[36:37], exec
	s_and_saveexec_b64 s[48:49], s[38:39]
	s_cbranch_execz .LBB12_531
	s_branch .LBB12_535
.LBB12_534:                             ;   in Loop: Header=BB12_532 Depth=2
	s_trap 2
	ds_read_b64 v[10:11], v0
	s_andn2_b64 s[38:39], s[38:39], exec
	s_mov_b32 s50, 0
	s_waitcnt vmcnt(0) lgkmcnt(0)
	flat_load_dword v2, v[10:11] sc0 sc1
	s_waitcnt vmcnt(0) lgkmcnt(0)
	buffer_inv sc0 sc1
	v_cmp_eq_u32_e32 vcc, 0, v2
	s_and_b64 vcc, vcc, exec
	s_or_b64 s[38:39], s[38:39], vcc
	s_mov_b64 vcc, -1
	s_or_b64 s[36:37], s[36:37], exec
	s_and_saveexec_b64 s[48:49], s[38:39]
	s_cbranch_execz .LBB12_531
.LBB12_535:                             ;   in Loop: Header=BB12_532 Depth=2
	s_sleep 1
	s_trap 2
	ds_read_b64 v[10:11], v0
	s_waitcnt lgkmcnt(0)
	s_andn2_b64 s[36:37], s[36:37], exec
	v_cmp_ge_u64_e32 vcc, v[10:11], v[26:27]
	s_orn2_b64 vcc, vcc, exec
	s_branch .LBB12_531
.LBB12_536:                             ;   in Loop: Header=BB12_77 Depth=1
	s_or_b64 exec, exec, s[34:35]
	s_and_saveexec_b64 vcc, s[36:37]
	s_xor_b64 vcc, exec, vcc
	s_cbranch_execz .LBB12_538
; %bb.537:                              ;   in Loop: Header=BB12_77 Depth=1
	ds_write_b32 v0, v116
	s_trap 2
.LBB12_538:                             ;   in Loop: Header=BB12_77 Depth=1
	s_or_b64 exec, exec, s[30:31]
	;;#ASMSTART
	s_wakeup
	;;#ASMEND
.LBB12_539:                             ;   in Loop: Header=BB12_77 Depth=1
	s_or_b64 exec, exec, s[94:95]
.LBB12_540:                             ;   in Loop: Header=BB12_77 Depth=1
	s_andn2_saveexec_b64 s[44:45], s[44:45]
	s_cbranch_execz .LBB12_542
; %bb.541:                              ;   in Loop: Header=BB12_77 Depth=1
	s_waitcnt lgkmcnt(0)
	s_barrier
.LBB12_542:                             ;   in Loop: Header=BB12_77 Depth=1
	s_or_b64 exec, exec, s[44:45]
	s_or_b64 exec, exec, s[40:41]
                                        ; implicit-def: $vgpr2
	s_and_saveexec_b64 s[40:41], s[24:25]
	s_xor_b64 s[40:41], exec, s[40:41]
	s_cbranch_execnz .LBB12_491
.LBB12_543:                             ;   in Loop: Header=BB12_77 Depth=1
	s_andn2_saveexec_b64 s[40:41], s[40:41]
	s_cbranch_execz .LBB12_611
.LBB12_544:                             ;   in Loop: Header=BB12_77 Depth=1
	s_and_saveexec_b64 s[44:45], s[60:61]
	s_xor_b64 s[44:45], exec, s[44:45]
	s_cbranch_execz .LBB12_608
; %bb.545:                              ;   in Loop: Header=BB12_77 Depth=1
	s_and_saveexec_b64 s[94:95], s[16:17]
	s_cbranch_execz .LBB12_607
; %bb.546:                              ;   in Loop: Header=BB12_77 Depth=1
	s_mov_b64 s[34:35], exec
	v_mbcnt_lo_u32_b32 v2, s34, 0
	v_mbcnt_hi_u32_b32 v2, s35, v2
	v_cmp_eq_u32_e32 vcc, 0, v2
	;;#ASMSTART
	s_waitcnt lgkmcnt(0) vmcnt(0)
	;;#ASMEND
	s_and_saveexec_b64 s[30:31], vcc
	s_cbranch_execz .LBB12_548
; %bb.547:                              ;   in Loop: Header=BB12_77 Depth=1
	s_bcnt1_i32_b64 vcc_lo, s[34:35]
	v_mov_b32_e32 v2, vcc_lo
	s_waitcnt lgkmcnt(0)
	ds_add_u64 v0, v[2:3]
	s_trap 2
.LBB12_548:                             ;   in Loop: Header=BB12_77 Depth=1
	s_or_b64 exec, exec, s[30:31]
	s_trap 2
	ds_read_b64 v[10:11], v0
	s_waitcnt lgkmcnt(0)
	v_lshl_add_u64 v[26:27], v[26:27], 0, v[34:35]
	v_cmp_lt_u64_e32 vcc, v[10:11], v[26:27]
	s_and_saveexec_b64 s[30:31], vcc
	s_cbranch_execz .LBB12_606
; %bb.549:                              ;   in Loop: Header=BB12_77 Depth=1
	s_mov_b32 s52, 0
	s_mov_b64 s[34:35], 0
                                        ; implicit-def: $sgpr36_sgpr37
                                        ; implicit-def: $sgpr38_sgpr39
	s_branch .LBB12_551
.LBB12_550:                             ;   in Loop: Header=BB12_551 Depth=2
	s_or_b64 exec, exec, s[50:51]
	s_and_b64 vcc, exec, vcc
	s_or_b64 s[34:35], vcc, s[34:35]
	s_andn2_b64 vcc, s[36:37], exec
	s_and_b64 s[36:37], s[38:39], exec
	s_or_b64 s[36:37], vcc, s[36:37]
	s_andn2_b64 exec, exec, s[34:35]
	s_cbranch_execz .LBB12_604
.LBB12_551:                             ;   Parent Loop BB12_77 Depth=1
                                        ; =>  This Inner Loop Header: Depth=2
	s_add_i32 s52, s52, 1
	s_cmpk_lg_i32 s52, 0x2710
	s_cselect_b64 s[48:49], -1, 0
	s_and_b64 vcc, exec, s[48:49]
	s_cbranch_vccz .LBB12_553
; %bb.552:                              ;   in Loop: Header=BB12_551 Depth=2
	s_mov_b64 vcc, -1
	s_or_b64 s[38:39], s[38:39], exec
	s_and_saveexec_b64 s[50:51], s[48:49]
	s_cbranch_execz .LBB12_550
	s_branch .LBB12_554
.LBB12_553:                             ;   in Loop: Header=BB12_551 Depth=2
	s_trap 2
	ds_read_b64 v[10:11], v0
	s_andn2_b64 s[48:49], s[48:49], exec
	s_mov_b32 s52, 0
	s_waitcnt vmcnt(0) lgkmcnt(0)
	flat_load_dword v2, v[10:11] sc0 sc1
	s_waitcnt vmcnt(0) lgkmcnt(0)
	buffer_inv sc0 sc1
	v_cmp_eq_u32_e32 vcc, 0, v2
	s_and_b64 vcc, vcc, exec
	s_or_b64 s[48:49], s[48:49], vcc
	s_mov_b64 vcc, -1
	s_or_b64 s[38:39], s[38:39], exec
	s_and_saveexec_b64 s[50:51], s[48:49]
	s_cbranch_execz .LBB12_550
.LBB12_554:                             ;   in Loop: Header=BB12_551 Depth=2
	s_sleep 1
	s_trap 2
	ds_read_b64 v[10:11], v0
	s_waitcnt lgkmcnt(0)
	s_andn2_b64 s[38:39], s[38:39], exec
	v_cmp_ge_u64_e32 vcc, v[10:11], v[26:27]
	s_orn2_b64 vcc, vcc, exec
	s_branch .LBB12_550
.LBB12_555:                             ;   in Loop: Header=BB12_77 Depth=1
	s_or_b64 exec, exec, s[30:31]
	s_and_saveexec_b64 vcc, s[34:35]
	s_xor_b64 vcc, exec, vcc
	s_cbranch_execz .LBB12_557
; %bb.556:                              ;   in Loop: Header=BB12_77 Depth=1
	ds_write_b32 v0, v116
	s_trap 2
.LBB12_557:                             ;   in Loop: Header=BB12_77 Depth=1
	s_or_b64 exec, exec, s[94:95]
	;;#ASMSTART
	s_wakeup
	;;#ASMEND
.LBB12_558:                             ;   in Loop: Header=BB12_77 Depth=1
	s_or_b64 exec, exec, s[92:93]
.LBB12_559:                             ;   in Loop: Header=BB12_77 Depth=1
	s_andn2_saveexec_b64 s[44:45], s[44:45]
	s_cbranch_execz .LBB12_561
; %bb.560:                              ;   in Loop: Header=BB12_77 Depth=1
	;;#ASMSTART
	s_waitcnt lgkmcnt(0) vmcnt(0)
	;;#ASMEND
	s_barrier
.LBB12_561:                             ;   in Loop: Header=BB12_77 Depth=1
	s_or_b64 exec, exec, s[44:45]
	v_and_b32_e32 v2, 16, v114
.LBB12_562:                             ;   in Loop: Header=BB12_77 Depth=1
	s_or_b64 exec, exec, s[40:41]
	v_cmp_ne_u32_e32 vcc, 0, v2
	s_xor_b64 s[40:41], s[12:13], -1
	s_and_b64 s[44:45], vcc, s[40:41]
	s_and_saveexec_b64 s[40:41], s[44:45]
	s_cbranch_execz .LBB12_564
; %bb.563:                              ;   in Loop: Header=BB12_77 Depth=1
	flat_store_dword v[28:29], v116 sc0 sc1
.LBB12_564:                             ;   in Loop: Header=BB12_77 Depth=1
	s_or_b64 exec, exec, s[40:41]
	v_and_b32_e32 v2, 48, v114
	v_cmp_ne_u32_e32 vcc, 0, v2
	s_and_b64 s[40:41], vcc, exec
.LBB12_565:                             ;   in Loop: Header=BB12_77 Depth=1
	s_or_b64 exec, exec, s[42:43]
	s_and_b64 s[42:43], s[40:41], exec
                                        ; implicit-def: $vgpr84
                                        ; implicit-def: $vgpr42
                                        ; implicit-def: $vgpr10_vgpr11
.LBB12_566:                             ;   in Loop: Header=BB12_77 Depth=1
	s_andn2_saveexec_b64 s[44:45], s[88:89]
	s_cbranch_execz .LBB12_996
; %bb.567:                              ;   in Loop: Header=BB12_77 Depth=1
	v_mov_b32_e32 v85, 0
	s_and_saveexec_b64 s[88:89], s[28:29]
	s_cbranch_execz .LBB12_846
; %bb.568:                              ;   in Loop: Header=BB12_77 Depth=1
	s_and_saveexec_b64 s[40:41], s[0:1]
	s_cbranch_execz .LBB12_570
; %bb.569:                              ;   in Loop: Header=BB12_77 Depth=1
	s_trap 2
	ds_read_b128 v[96:99], v0
	s_waitcnt lgkmcnt(0)
	v_lshl_add_u64 v[12:13], v[96:97], 0, v[10:11]
	v_lshl_add_u64 v[10:11], v[98:99], 0, v[10:11]
	v_cmp_ne_u64_e32 vcc, 0, v[98:99]
	ds_write_b64 v0, v[12:13]
	s_nop 0
	v_cndmask_b32_e32 v11, 0, v11, vcc
	v_cndmask_b32_e32 v10, 0, v10, vcc
	ds_write_b64 v0, v[10:11]
.LBB12_570:                             ;   in Loop: Header=BB12_77 Depth=1
	s_or_b64 exec, exec, s[40:41]
	v_and_b32_e32 v2, 4, v114
	v_cmp_ne_u32_e32 vcc, 0, v2
	s_and_saveexec_b64 s[92:93], vcc
	s_cbranch_execz .LBB12_592
; %bb.571:                              ;   in Loop: Header=BB12_77 Depth=1
	v_lshl_add_u64 v[10:11], v[8:9], 0, 1
	s_waitcnt vmcnt(0) lgkmcnt(0)
	v_cmp_lt_u64_e32 vcc, v[32:33], v[10:11]
	s_and_saveexec_b64 s[94:95], vcc
	s_cbranch_execz .LBB12_583
; %bb.572:                              ;   in Loop: Header=BB12_77 Depth=1
	v_and_b32_e32 v2, 64, v114
	s_mov_b32 s66, 0
	v_cmp_eq_u32_e32 vcc, 0, v2
	s_mov_b64 s[30:31], 0
                                        ; implicit-def: $sgpr34_sgpr35
                                        ; implicit-def: $sgpr36_sgpr37
                                        ; implicit-def: $sgpr38_sgpr39
	s_branch .LBB12_576
.LBB12_573:                             ;   in Loop: Header=BB12_576 Depth=2
	s_waitcnt vmcnt(0) lgkmcnt(0)
	v_cmp_ge_u64_e64 s[40:41], v[32:33], v[10:11]
	s_or_b64 s[52:53], s[52:53], exec
	s_orn2_b64 s[50:51], s[40:41], exec
.LBB12_574:                             ;   in Loop: Header=BB12_576 Depth=2
	s_or_b64 exec, exec, s[64:65]
	s_andn2_b64 s[40:41], s[38:39], exec
	s_and_b64 s[38:39], s[52:53], exec
	s_or_b64 s[38:39], s[40:41], s[38:39]
	s_andn2_b64 s[40:41], s[36:37], exec
	s_and_b64 s[36:37], s[50:51], exec
	s_or_b64 s[36:37], s[40:41], s[36:37]
.LBB12_575:                             ;   in Loop: Header=BB12_576 Depth=2
	s_or_b64 exec, exec, s[48:49]
	s_and_b64 s[40:41], exec, s[36:37]
	s_or_b64 s[30:31], s[40:41], s[30:31]
	s_andn2_b64 s[40:41], s[34:35], exec
	s_and_b64 s[34:35], s[38:39], exec
	s_or_b64 s[34:35], s[40:41], s[34:35]
	s_andn2_b64 exec, exec, s[30:31]
	s_cbranch_execz .LBB12_580
.LBB12_576:                             ;   Parent Loop BB12_77 Depth=1
                                        ; =>  This Inner Loop Header: Depth=2
	s_sleep 1
	s_waitcnt vmcnt(0) lgkmcnt(0)
	flat_load_dwordx2 v[32:33], v[20:21] sc0 sc1
	s_or_b64 s[38:39], s[38:39], exec
	s_or_b64 s[36:37], s[36:37], exec
                                        ; implicit-def: $vgpr2
	s_and_saveexec_b64 s[48:49], vcc
	s_cbranch_execz .LBB12_575
; %bb.577:                              ;   in Loop: Header=BB12_576 Depth=2
	s_cmpk_lt_i32 s66, 0x270f
	s_cselect_b64 s[54:55], -1, 0
	s_cmpk_gt_i32 s66, 0x270e
	s_mov_b64 s[50:51], -1
	s_cbranch_scc0 .LBB12_579
; %bb.578:                              ;   in Loop: Header=BB12_576 Depth=2
	s_trap 2
	ds_read_b64 v[12:13], v0
	s_andn2_b64 s[54:55], s[54:55], exec
	s_mov_b32 s66, 0
	s_mov_b64 s[52:53], 0
	s_waitcnt vmcnt(0) lgkmcnt(0)
	flat_load_dword v2, v[12:13] sc0 sc1
	s_waitcnt vmcnt(0) lgkmcnt(0)
	buffer_inv sc0 sc1
	v_cmp_eq_u32_e64 s[40:41], 0, v2
	s_and_b64 s[40:41], s[40:41], exec
	s_or_b64 s[54:55], s[54:55], s[40:41]
	s_and_saveexec_b64 s[64:65], s[54:55]
	s_cbranch_execz .LBB12_574
	s_branch .LBB12_573
.LBB12_579:                             ;   in Loop: Header=BB12_576 Depth=2
	s_add_i32 s66, s66, 1
	s_mov_b64 s[52:53], -1
                                        ; implicit-def: $vgpr2
	s_and_saveexec_b64 s[64:65], s[54:55]
	s_cbranch_execz .LBB12_574
	s_branch .LBB12_573
.LBB12_580:                             ;   in Loop: Header=BB12_77 Depth=1
	s_or_b64 exec, exec, s[30:31]
	s_xor_b64 s[40:41], s[34:35], -1
	s_and_saveexec_b64 vcc, s[40:41]
	s_xor_b64 s[40:41], exec, vcc
	s_cbranch_execz .LBB12_582
; %bb.581:                              ;   in Loop: Header=BB12_77 Depth=1
	v_or_b32_e32 v114, 64, v114
	s_waitcnt lgkmcnt(0)
	ds_write_b32 v0, v2
	s_trap 2
.LBB12_582:                             ;   in Loop: Header=BB12_77 Depth=1
	s_or_b64 exec, exec, s[40:41]
.LBB12_583:                             ;   in Loop: Header=BB12_77 Depth=1
	s_or_b64 exec, exec, s[94:95]
	v_and_b32_e32 v2, 0x100, v114
	v_cmp_ne_u32_e32 vcc, 0, v2
	v_and_b32_e32 v2, 7, v8
	s_mov_b64 s[40:41], -1
	;;#ASMSTART
	s_wakeup
	;;#ASMEND
                                        ; implicit-def: $vgpr8_vgpr9
	s_and_saveexec_b64 s[94:95], vcc
	s_cbranch_execz .LBB12_587
; %bb.584:                              ;   in Loop: Header=BB12_77 Depth=1
	v_mad_u64_u32 v[12:13], s[40:41], v2, 24, v[6:7]
	flat_load_dword v8, v[12:13]
	s_waitcnt vmcnt(0) lgkmcnt(0)
	v_cmp_ne_u32_e32 vcc, 1, v8
	v_cmp_eq_u32_e64 s[40:41], 1, v8
                                        ; implicit-def: $vgpr8_vgpr9
	s_and_saveexec_b64 s[30:31], s[40:41]
	s_cbranch_execz .LBB12_586
; %bb.585:                              ;   in Loop: Header=BB12_77 Depth=1
	flat_load_dword v8, v[12:13] offset:4 sc0 sc1
	s_waitcnt vmcnt(0) lgkmcnt(0)
	v_ashrrev_i32_e32 v9, 31, v8
.LBB12_586:                             ;   in Loop: Header=BB12_77 Depth=1
	s_or_b64 exec, exec, s[30:31]
	s_orn2_b64 s[40:41], vcc, exec
.LBB12_587:                             ;   in Loop: Header=BB12_77 Depth=1
	s_or_b64 exec, exec, s[94:95]
	s_and_saveexec_b64 s[94:95], s[40:41]
; %bb.588:                              ;   in Loop: Header=BB12_77 Depth=1
	v_mad_i64_i32 v[8:9], s[40:41], v2, v22, 0
; %bb.589:                              ;   in Loop: Header=BB12_77 Depth=1
	s_or_b64 exec, exec, s[94:95]
	v_and_b32_e32 v2, 0x2000, v114
	v_lshl_add_u64 v[8:9], v[24:25], 0, v[8:9]
	v_cmp_ne_u32_e32 vcc, 0, v2
	ds_write_b64 v0, v[8:9] offset:720
	s_and_saveexec_b64 s[40:41], vcc
	s_cbranch_execz .LBB12_591
; %bb.590:                              ;   in Loop: Header=BB12_77 Depth=1
	ds_read_b64 v[8:9], v0 offset:872
	s_waitcnt lgkmcnt(0)
	v_lshl_add_u64 v[8:9], v[8:9], 0, 1
	ds_write_b64 v0, v[8:9] offset:872
.LBB12_591:                             ;   in Loop: Header=BB12_77 Depth=1
	s_or_b64 exec, exec, s[40:41]
	v_mov_b64_e32 v[8:9], v[10:11]
.LBB12_592:                             ;   in Loop: Header=BB12_77 Depth=1
	s_or_b64 exec, exec, s[92:93]
	s_and_saveexec_b64 s[40:41], s[10:11]
	s_cbranch_execz .LBB12_660
; %bb.593:                              ;   in Loop: Header=BB12_77 Depth=1
	s_and_saveexec_b64 s[92:93], s[60:61]
	s_xor_b64 s[92:93], exec, s[92:93]
	s_cbranch_execz .LBB12_657
; %bb.594:                              ;   in Loop: Header=BB12_77 Depth=1
	s_and_saveexec_b64 s[94:95], s[16:17]
	s_cbranch_execz .LBB12_656
; %bb.595:                              ;   in Loop: Header=BB12_77 Depth=1
	s_mov_b64 s[34:35], exec
	v_mbcnt_lo_u32_b32 v2, s34, 0
	v_mbcnt_hi_u32_b32 v2, s35, v2
	v_cmp_eq_u32_e32 vcc, 0, v2
	s_waitcnt lgkmcnt(0)
	s_and_saveexec_b64 s[30:31], vcc
	s_cbranch_execz .LBB12_597
; %bb.596:                              ;   in Loop: Header=BB12_77 Depth=1
	s_bcnt1_i32_b64 vcc_lo, s[34:35]
	v_mov_b32_e32 v2, vcc_lo
	ds_add_u64 v0, v[2:3]
	s_trap 2
.LBB12_597:                             ;   in Loop: Header=BB12_77 Depth=1
	s_or_b64 exec, exec, s[30:31]
	s_trap 2
	ds_read_b64 v[10:11], v0
	s_waitcnt lgkmcnt(0)
	v_lshl_add_u64 v[26:27], v[26:27], 0, v[34:35]
	v_cmp_lt_u64_e32 vcc, v[10:11], v[26:27]
	s_and_saveexec_b64 s[30:31], vcc
	s_cbranch_execz .LBB12_655
; %bb.598:                              ;   in Loop: Header=BB12_77 Depth=1
	s_mov_b32 s52, 0
	s_mov_b64 s[34:35], 0
                                        ; implicit-def: $sgpr36_sgpr37
                                        ; implicit-def: $sgpr38_sgpr39
	s_branch .LBB12_600
.LBB12_599:                             ;   in Loop: Header=BB12_600 Depth=2
	s_or_b64 exec, exec, s[50:51]
	s_and_b64 vcc, exec, vcc
	s_or_b64 s[34:35], vcc, s[34:35]
	s_andn2_b64 vcc, s[36:37], exec
	s_and_b64 s[36:37], s[38:39], exec
	s_or_b64 s[36:37], vcc, s[36:37]
	s_andn2_b64 exec, exec, s[34:35]
	s_cbranch_execz .LBB12_653
.LBB12_600:                             ;   Parent Loop BB12_77 Depth=1
                                        ; =>  This Inner Loop Header: Depth=2
	s_add_i32 s52, s52, 1
	s_cmpk_lg_i32 s52, 0x2710
	s_cselect_b64 s[48:49], -1, 0
	s_and_b64 vcc, exec, s[48:49]
	s_cbranch_vccz .LBB12_602
; %bb.601:                              ;   in Loop: Header=BB12_600 Depth=2
	s_mov_b64 vcc, -1
	s_or_b64 s[38:39], s[38:39], exec
	s_and_saveexec_b64 s[50:51], s[48:49]
	s_cbranch_execz .LBB12_599
	s_branch .LBB12_603
.LBB12_602:                             ;   in Loop: Header=BB12_600 Depth=2
	s_trap 2
	ds_read_b64 v[10:11], v0
	s_andn2_b64 s[48:49], s[48:49], exec
	s_mov_b32 s52, 0
	s_waitcnt vmcnt(0) lgkmcnt(0)
	flat_load_dword v2, v[10:11] sc0 sc1
	s_waitcnt vmcnt(0) lgkmcnt(0)
	buffer_inv sc0 sc1
	v_cmp_eq_u32_e32 vcc, 0, v2
	s_and_b64 vcc, vcc, exec
	s_or_b64 s[48:49], s[48:49], vcc
	s_mov_b64 vcc, -1
	s_or_b64 s[38:39], s[38:39], exec
	s_and_saveexec_b64 s[50:51], s[48:49]
	s_cbranch_execz .LBB12_599
.LBB12_603:                             ;   in Loop: Header=BB12_600 Depth=2
	s_sleep 1
	s_trap 2
	ds_read_b64 v[10:11], v0
	s_waitcnt lgkmcnt(0)
	s_andn2_b64 s[38:39], s[38:39], exec
	v_cmp_ge_u64_e32 vcc, v[10:11], v[26:27]
	s_orn2_b64 vcc, vcc, exec
	s_branch .LBB12_599
.LBB12_604:                             ;   in Loop: Header=BB12_77 Depth=1
	s_or_b64 exec, exec, s[34:35]
	s_and_saveexec_b64 vcc, s[36:37]
	s_xor_b64 vcc, exec, vcc
	s_cbranch_execz .LBB12_606
; %bb.605:                              ;   in Loop: Header=BB12_77 Depth=1
	ds_write_b32 v0, v116
	s_trap 2
.LBB12_606:                             ;   in Loop: Header=BB12_77 Depth=1
	s_or_b64 exec, exec, s[30:31]
	;;#ASMSTART
	s_wakeup
	;;#ASMEND
.LBB12_607:                             ;   in Loop: Header=BB12_77 Depth=1
	s_or_b64 exec, exec, s[94:95]
.LBB12_608:                             ;   in Loop: Header=BB12_77 Depth=1
	s_andn2_saveexec_b64 s[44:45], s[44:45]
	s_cbranch_execz .LBB12_610
; %bb.609:                              ;   in Loop: Header=BB12_77 Depth=1
	;;#ASMSTART
	s_waitcnt lgkmcnt(0) vmcnt(0)
	;;#ASMEND
	s_barrier
.LBB12_610:                             ;   in Loop: Header=BB12_77 Depth=1
	s_or_b64 exec, exec, s[44:45]
	v_and_b32_e32 v2, 16, v114
.LBB12_611:                             ;   in Loop: Header=BB12_77 Depth=1
	s_or_b64 exec, exec, s[40:41]
	v_cmp_ne_u32_e32 vcc, 0, v2
	s_mov_b64 s[44:45], 0
	s_mov_b64 s[40:41], s[88:89]
	s_and_saveexec_b64 s[94:95], vcc
	s_xor_b64 s[94:95], exec, s[94:95]
; %bb.612:                              ;   in Loop: Header=BB12_77 Depth=1
	s_andn2_b64 s[40:41], s[88:89], exec
	s_and_b64 s[44:45], s[12:13], exec
	s_or_b64 s[40:41], s[40:41], s[44:45]
	s_and_b64 s[44:45], s[14:15], exec
; %bb.613:                              ;   in Loop: Header=BB12_77 Depth=1
	s_or_b64 exec, exec, s[94:95]
	s_andn2_b64 s[94:95], s[88:89], exec
	s_and_b64 s[40:41], s[40:41], exec
	s_or_b64 s[40:41], s[94:95], s[40:41]
	s_and_b64 s[44:45], s[44:45], exec
.LBB12_614:                             ;   in Loop: Header=BB12_77 Depth=1
	s_or_b64 exec, exec, s[42:43]
	s_andn2_b64 s[42:43], s[88:89], exec
	s_and_b64 s[40:41], s[40:41], exec
	s_or_b64 s[40:41], s[42:43], s[40:41]
	s_and_b64 s[42:43], s[44:45], exec
                                        ; implicit-def: $vgpr84
                                        ; implicit-def: $vgpr42
                                        ; implicit-def: $vgpr10_vgpr11
.LBB12_615:                             ;   in Loop: Header=BB12_77 Depth=1
	s_andn2_saveexec_b64 s[44:45], s[92:93]
	s_cbranch_execz .LBB12_984
; %bb.616:                              ;   in Loop: Header=BB12_77 Depth=1
	v_mov_b32_e32 v2, 0
	s_and_saveexec_b64 s[92:93], s[28:29]
	s_cbranch_execz .LBB12_896
; %bb.617:                              ;   in Loop: Header=BB12_77 Depth=1
	s_and_saveexec_b64 s[28:29], s[0:1]
	s_cbranch_execz .LBB12_619
; %bb.618:                              ;   in Loop: Header=BB12_77 Depth=1
	s_trap 2
	ds_read_b64 v[12:13], v0
	s_waitcnt lgkmcnt(0)
	v_lshl_add_u64 v[10:11], v[12:13], 0, v[10:11]
	ds_write_b64 v0, v[10:11]
	ds_write_b64 v0, v[56:57]
.LBB12_619:                             ;   in Loop: Header=BB12_77 Depth=1
	s_or_b64 exec, exec, s[28:29]
	v_and_b32_e32 v2, 8, v114
	v_min_i32_e32 v84, v84, v42
	v_cmp_ne_u32_e32 vcc, 0, v2
	s_and_saveexec_b64 s[94:95], vcc
	s_cbranch_execz .LBB12_641
; %bb.620:                              ;   in Loop: Header=BB12_77 Depth=1
	s_waitcnt vmcnt(0) lgkmcnt(0)
	v_lshl_add_u64 v[12:13], v[32:33], 0, 8
	v_lshl_add_u64 v[10:11], v[8:9], 0, 1
	v_cmp_lt_u64_e32 vcc, v[12:13], v[10:11]
	s_and_saveexec_b64 s[30:31], vcc
	s_cbranch_execz .LBB12_632
; %bb.621:                              ;   in Loop: Header=BB12_77 Depth=1
	v_and_b32_e32 v2, 64, v114
	s_mov_b32 s80, 0
	v_cmp_eq_u32_e32 vcc, 0, v2
	s_mov_b64 s[34:35], 0
                                        ; implicit-def: $sgpr36_sgpr37
                                        ; implicit-def: $sgpr38_sgpr39
                                        ; implicit-def: $sgpr48_sgpr49
	s_branch .LBB12_625
.LBB12_622:                             ;   in Loop: Header=BB12_625 Depth=2
	s_waitcnt vmcnt(0) lgkmcnt(0)
	v_lshl_add_u64 v[12:13], v[32:33], 0, 8
	v_cmp_ge_u64_e64 s[28:29], v[12:13], v[10:11]
	s_or_b64 s[54:55], s[54:55], exec
	s_orn2_b64 s[52:53], s[28:29], exec
.LBB12_623:                             ;   in Loop: Header=BB12_625 Depth=2
	s_or_b64 exec, exec, s[66:67]
	s_andn2_b64 s[28:29], s[48:49], exec
	s_and_b64 s[48:49], s[54:55], exec
	s_or_b64 s[48:49], s[28:29], s[48:49]
	s_andn2_b64 s[28:29], s[38:39], exec
	s_and_b64 s[38:39], s[52:53], exec
	s_or_b64 s[38:39], s[28:29], s[38:39]
.LBB12_624:                             ;   in Loop: Header=BB12_625 Depth=2
	s_or_b64 exec, exec, s[50:51]
	s_and_b64 s[28:29], exec, s[38:39]
	s_or_b64 s[34:35], s[28:29], s[34:35]
	s_andn2_b64 s[28:29], s[36:37], exec
	s_and_b64 s[36:37], s[48:49], exec
	s_or_b64 s[36:37], s[28:29], s[36:37]
	s_andn2_b64 exec, exec, s[34:35]
	s_cbranch_execz .LBB12_629
.LBB12_625:                             ;   Parent Loop BB12_77 Depth=1
                                        ; =>  This Inner Loop Header: Depth=2
	s_sleep 1
	s_waitcnt vmcnt(0) lgkmcnt(0)
	flat_load_dwordx2 v[32:33], v[20:21] sc0 sc1
	s_or_b64 s[48:49], s[48:49], exec
	s_or_b64 s[38:39], s[38:39], exec
                                        ; implicit-def: $vgpr2
	s_and_saveexec_b64 s[50:51], vcc
	s_cbranch_execz .LBB12_624
; %bb.626:                              ;   in Loop: Header=BB12_625 Depth=2
	s_cmpk_lt_i32 s80, 0x270f
	s_cselect_b64 s[64:65], -1, 0
	s_cmpk_gt_i32 s80, 0x270e
	s_mov_b64 s[52:53], -1
	s_cbranch_scc0 .LBB12_628
; %bb.627:                              ;   in Loop: Header=BB12_625 Depth=2
	s_trap 2
	ds_read_b64 v[12:13], v0
	s_andn2_b64 s[64:65], s[64:65], exec
	s_mov_b32 s80, 0
	s_mov_b64 s[54:55], 0
	s_waitcnt vmcnt(0) lgkmcnt(0)
	flat_load_dword v2, v[12:13] sc0 sc1
	s_waitcnt vmcnt(0) lgkmcnt(0)
	buffer_inv sc0 sc1
	v_cmp_eq_u32_e64 s[28:29], 0, v2
	s_and_b64 s[28:29], s[28:29], exec
	s_or_b64 s[64:65], s[64:65], s[28:29]
	s_and_saveexec_b64 s[66:67], s[64:65]
	s_cbranch_execz .LBB12_623
	s_branch .LBB12_622
.LBB12_628:                             ;   in Loop: Header=BB12_625 Depth=2
	s_add_i32 s80, s80, 1
	s_mov_b64 s[54:55], -1
                                        ; implicit-def: $vgpr2
	s_and_saveexec_b64 s[66:67], s[64:65]
	s_cbranch_execz .LBB12_623
	s_branch .LBB12_622
.LBB12_629:                             ;   in Loop: Header=BB12_77 Depth=1
	s_or_b64 exec, exec, s[34:35]
	s_xor_b64 s[28:29], s[36:37], -1
	s_and_saveexec_b64 vcc, s[28:29]
	s_xor_b64 s[28:29], exec, vcc
	s_cbranch_execz .LBB12_631
; %bb.630:                              ;   in Loop: Header=BB12_77 Depth=1
	v_or_b32_e32 v114, 64, v114
	s_waitcnt lgkmcnt(0)
	ds_write_b32 v0, v2
	s_trap 2
.LBB12_631:                             ;   in Loop: Header=BB12_77 Depth=1
	s_or_b64 exec, exec, s[28:29]
.LBB12_632:                             ;   in Loop: Header=BB12_77 Depth=1
	s_or_b64 exec, exec, s[30:31]
	v_and_b32_e32 v2, 0x100, v114
	v_cmp_ne_u32_e32 vcc, 0, v2
	v_and_b32_e32 v2, 7, v8
	s_mov_b64 s[28:29], -1
	;;#ASMSTART
	s_wakeup
	;;#ASMEND
                                        ; implicit-def: $vgpr8_vgpr9
	s_and_saveexec_b64 s[30:31], vcc
	s_cbranch_execz .LBB12_636
; %bb.633:                              ;   in Loop: Header=BB12_77 Depth=1
	v_mad_u64_u32 v[12:13], s[28:29], v2, 24, v[6:7]
	flat_load_dword v8, v[12:13]
	v_ashrrev_i32_e32 v85, 31, v84
	flat_store_dwordx2 v[12:13], v[84:85] offset:8
	s_waitcnt vmcnt(0) lgkmcnt(0)
	v_cmp_ne_u32_e32 vcc, 1, v8
	v_cmp_eq_u32_e64 s[28:29], 1, v8
                                        ; implicit-def: $vgpr8_vgpr9
	s_and_saveexec_b64 s[34:35], s[28:29]
	s_cbranch_execz .LBB12_635
; %bb.634:                              ;   in Loop: Header=BB12_77 Depth=1
	flat_load_dword v8, v[12:13] offset:4 sc0 sc1
	s_waitcnt vmcnt(0) lgkmcnt(0)
	v_ashrrev_i32_e32 v9, 31, v8
.LBB12_635:                             ;   in Loop: Header=BB12_77 Depth=1
	s_or_b64 exec, exec, s[34:35]
	s_orn2_b64 s[28:29], vcc, exec
.LBB12_636:                             ;   in Loop: Header=BB12_77 Depth=1
	s_or_b64 exec, exec, s[30:31]
	s_and_saveexec_b64 vcc, s[28:29]
; %bb.637:                              ;   in Loop: Header=BB12_77 Depth=1
	v_mad_i64_i32 v[8:9], s[28:29], v2, v22, 0
; %bb.638:                              ;   in Loop: Header=BB12_77 Depth=1
	s_or_b64 exec, exec, vcc
	v_and_b32_e32 v2, 0x2000, v114
	v_lshl_add_u64 v[8:9], v[24:25], 0, v[8:9]
	v_cmp_ne_u32_e32 vcc, 0, v2
	ds_write_b64 v0, v[8:9] offset:784
	s_and_saveexec_b64 s[28:29], vcc
	s_cbranch_execz .LBB12_640
; %bb.639:                              ;   in Loop: Header=BB12_77 Depth=1
	ds_read_b64 v[8:9], v0 offset:872
	s_waitcnt lgkmcnt(0)
	v_lshl_add_u64 v[8:9], v[8:9], 0, 1
	ds_write_b64 v0, v[8:9] offset:872
.LBB12_640:                             ;   in Loop: Header=BB12_77 Depth=1
	s_or_b64 exec, exec, s[28:29]
	v_mov_b64_e32 v[8:9], v[10:11]
.LBB12_641:                             ;   in Loop: Header=BB12_77 Depth=1
	s_or_b64 exec, exec, s[94:95]
	s_and_saveexec_b64 s[28:29], s[10:11]
	s_cbranch_execz .LBB12_679
; %bb.642:                              ;   in Loop: Header=BB12_77 Depth=1
	s_and_saveexec_b64 s[94:95], s[60:61]
	s_xor_b64 s[94:95], exec, s[94:95]
	s_cbranch_execz .LBB12_676
; %bb.643:                              ;   in Loop: Header=BB12_77 Depth=1
	s_and_saveexec_b64 s[30:31], s[16:17]
	s_cbranch_execz .LBB12_675
; %bb.644:                              ;   in Loop: Header=BB12_77 Depth=1
	s_mov_b64 s[36:37], exec
	v_mbcnt_lo_u32_b32 v2, s36, 0
	v_mbcnt_hi_u32_b32 v2, s37, v2
	v_cmp_eq_u32_e32 vcc, 0, v2
	s_waitcnt lgkmcnt(0)
	s_and_saveexec_b64 s[34:35], vcc
	s_cbranch_execz .LBB12_646
; %bb.645:                              ;   in Loop: Header=BB12_77 Depth=1
	s_bcnt1_i32_b64 vcc_lo, s[36:37]
	v_mov_b32_e32 v2, vcc_lo
	ds_add_u64 v0, v[2:3]
	s_trap 2
.LBB12_646:                             ;   in Loop: Header=BB12_77 Depth=1
	s_or_b64 exec, exec, s[34:35]
	s_trap 2
	ds_read_b64 v[10:11], v0
	s_waitcnt lgkmcnt(0)
	v_lshl_add_u64 v[26:27], v[26:27], 0, v[34:35]
	v_cmp_lt_u64_e32 vcc, v[10:11], v[26:27]
	s_and_saveexec_b64 s[34:35], vcc
	s_cbranch_execz .LBB12_674
; %bb.647:                              ;   in Loop: Header=BB12_77 Depth=1
	s_mov_b32 s54, 0
	s_mov_b64 s[36:37], 0
                                        ; implicit-def: $sgpr38_sgpr39
                                        ; implicit-def: $sgpr48_sgpr49
	s_branch .LBB12_649
.LBB12_648:                             ;   in Loop: Header=BB12_649 Depth=2
	s_or_b64 exec, exec, s[52:53]
	s_and_b64 vcc, exec, vcc
	s_or_b64 s[36:37], vcc, s[36:37]
	s_andn2_b64 vcc, s[38:39], exec
	s_and_b64 s[38:39], s[48:49], exec
	s_or_b64 s[38:39], vcc, s[38:39]
	s_andn2_b64 exec, exec, s[36:37]
	s_cbranch_execz .LBB12_672
.LBB12_649:                             ;   Parent Loop BB12_77 Depth=1
                                        ; =>  This Inner Loop Header: Depth=2
	s_add_i32 s54, s54, 1
	s_cmpk_lg_i32 s54, 0x2710
	s_cselect_b64 s[50:51], -1, 0
	s_and_b64 vcc, exec, s[50:51]
	s_cbranch_vccz .LBB12_651
; %bb.650:                              ;   in Loop: Header=BB12_649 Depth=2
	s_mov_b64 vcc, -1
	s_or_b64 s[48:49], s[48:49], exec
	s_and_saveexec_b64 s[52:53], s[50:51]
	s_cbranch_execz .LBB12_648
	s_branch .LBB12_652
.LBB12_651:                             ;   in Loop: Header=BB12_649 Depth=2
	s_trap 2
	ds_read_b64 v[10:11], v0
	s_andn2_b64 s[50:51], s[50:51], exec
	s_mov_b32 s54, 0
	s_waitcnt vmcnt(0) lgkmcnt(0)
	flat_load_dword v2, v[10:11] sc0 sc1
	s_waitcnt vmcnt(0) lgkmcnt(0)
	buffer_inv sc0 sc1
	v_cmp_eq_u32_e32 vcc, 0, v2
	s_and_b64 vcc, vcc, exec
	s_or_b64 s[50:51], s[50:51], vcc
	s_mov_b64 vcc, -1
	s_or_b64 s[48:49], s[48:49], exec
	s_and_saveexec_b64 s[52:53], s[50:51]
	s_cbranch_execz .LBB12_648
.LBB12_652:                             ;   in Loop: Header=BB12_649 Depth=2
	s_sleep 1
	s_trap 2
	ds_read_b64 v[10:11], v0
	s_waitcnt lgkmcnt(0)
	s_andn2_b64 s[48:49], s[48:49], exec
	v_cmp_ge_u64_e32 vcc, v[10:11], v[26:27]
	s_orn2_b64 vcc, vcc, exec
	s_branch .LBB12_648
.LBB12_653:                             ;   in Loop: Header=BB12_77 Depth=1
	s_or_b64 exec, exec, s[34:35]
	s_and_saveexec_b64 vcc, s[36:37]
	s_xor_b64 vcc, exec, vcc
	s_cbranch_execz .LBB12_655
; %bb.654:                              ;   in Loop: Header=BB12_77 Depth=1
	ds_write_b32 v0, v116
	s_trap 2
.LBB12_655:                             ;   in Loop: Header=BB12_77 Depth=1
	s_or_b64 exec, exec, s[30:31]
	;;#ASMSTART
	s_wakeup
	;;#ASMEND
.LBB12_656:                             ;   in Loop: Header=BB12_77 Depth=1
	s_or_b64 exec, exec, s[94:95]
.LBB12_657:                             ;   in Loop: Header=BB12_77 Depth=1
	s_andn2_saveexec_b64 s[92:93], s[92:93]
	s_cbranch_execz .LBB12_659
; %bb.658:                              ;   in Loop: Header=BB12_77 Depth=1
	s_waitcnt lgkmcnt(0)
	s_barrier
.LBB12_659:                             ;   in Loop: Header=BB12_77 Depth=1
	s_or_b64 exec, exec, s[92:93]
.LBB12_660:                             ;   in Loop: Header=BB12_77 Depth=1
	s_or_b64 exec, exec, s[40:41]
	s_trap 2
	ds_read_b32 v85, v0
	v_and_b32_e32 v2, 0x4000, v114
	v_cmp_ne_u32_e32 vcc, 0, v2
	s_xor_b64 s[40:41], s[6:7], -1
	s_and_b64 s[92:93], s[40:41], vcc
	s_and_saveexec_b64 s[40:41], s[92:93]
	s_cbranch_execz .LBB12_698
; %bb.661:                              ;   in Loop: Header=BB12_77 Depth=1
	s_and_saveexec_b64 s[92:93], s[60:61]
	s_xor_b64 s[92:93], exec, s[92:93]
	s_cbranch_execz .LBB12_695
; %bb.662:                              ;   in Loop: Header=BB12_77 Depth=1
	s_and_saveexec_b64 s[94:95], s[16:17]
	s_cbranch_execz .LBB12_694
; %bb.663:                              ;   in Loop: Header=BB12_77 Depth=1
	s_mov_b64 s[34:35], exec
	v_mbcnt_lo_u32_b32 v2, s34, 0
	v_mbcnt_hi_u32_b32 v2, s35, v2
	v_cmp_eq_u32_e32 vcc, 0, v2
	s_waitcnt lgkmcnt(0)
	s_and_saveexec_b64 s[30:31], vcc
	s_cbranch_execz .LBB12_665
; %bb.664:                              ;   in Loop: Header=BB12_77 Depth=1
	s_bcnt1_i32_b64 vcc_lo, s[34:35]
	v_mov_b32_e32 v2, vcc_lo
	ds_add_u64 v0, v[2:3]
	s_trap 2
.LBB12_665:                             ;   in Loop: Header=BB12_77 Depth=1
	s_or_b64 exec, exec, s[30:31]
	s_trap 2
	ds_read_b64 v[10:11], v0
	s_waitcnt lgkmcnt(0)
	v_lshl_add_u64 v[26:27], v[26:27], 0, v[34:35]
	v_cmp_lt_u64_e32 vcc, v[10:11], v[26:27]
	s_and_saveexec_b64 s[30:31], vcc
	s_cbranch_execz .LBB12_693
; %bb.666:                              ;   in Loop: Header=BB12_77 Depth=1
	s_mov_b32 s52, 0
	s_mov_b64 s[34:35], 0
                                        ; implicit-def: $sgpr36_sgpr37
                                        ; implicit-def: $sgpr38_sgpr39
	s_branch .LBB12_668
.LBB12_667:                             ;   in Loop: Header=BB12_668 Depth=2
	s_or_b64 exec, exec, s[50:51]
	s_and_b64 vcc, exec, vcc
	s_or_b64 s[34:35], vcc, s[34:35]
	s_andn2_b64 vcc, s[36:37], exec
	s_and_b64 s[36:37], s[38:39], exec
	s_or_b64 s[36:37], vcc, s[36:37]
	s_andn2_b64 exec, exec, s[34:35]
	s_cbranch_execz .LBB12_691
.LBB12_668:                             ;   Parent Loop BB12_77 Depth=1
                                        ; =>  This Inner Loop Header: Depth=2
	s_add_i32 s52, s52, 1
	s_cmpk_lg_i32 s52, 0x2710
	s_cselect_b64 s[48:49], -1, 0
	s_and_b64 vcc, exec, s[48:49]
	s_cbranch_vccz .LBB12_670
; %bb.669:                              ;   in Loop: Header=BB12_668 Depth=2
	s_mov_b64 vcc, -1
	s_or_b64 s[38:39], s[38:39], exec
	s_and_saveexec_b64 s[50:51], s[48:49]
	s_cbranch_execz .LBB12_667
	s_branch .LBB12_671
.LBB12_670:                             ;   in Loop: Header=BB12_668 Depth=2
	s_trap 2
	ds_read_b64 v[10:11], v0
	s_andn2_b64 s[48:49], s[48:49], exec
	s_mov_b32 s52, 0
	s_waitcnt vmcnt(0) lgkmcnt(0)
	flat_load_dword v2, v[10:11] sc0 sc1
	s_waitcnt vmcnt(0) lgkmcnt(0)
	buffer_inv sc0 sc1
	v_cmp_eq_u32_e32 vcc, 0, v2
	s_and_b64 vcc, vcc, exec
	s_or_b64 s[48:49], s[48:49], vcc
	s_mov_b64 vcc, -1
	s_or_b64 s[38:39], s[38:39], exec
	s_and_saveexec_b64 s[50:51], s[48:49]
	s_cbranch_execz .LBB12_667
.LBB12_671:                             ;   in Loop: Header=BB12_668 Depth=2
	s_sleep 1
	s_trap 2
	ds_read_b64 v[10:11], v0
	s_waitcnt lgkmcnt(0)
	s_andn2_b64 s[38:39], s[38:39], exec
	v_cmp_ge_u64_e32 vcc, v[10:11], v[26:27]
	s_orn2_b64 vcc, vcc, exec
	s_branch .LBB12_667
.LBB12_672:                             ;   in Loop: Header=BB12_77 Depth=1
	s_or_b64 exec, exec, s[36:37]
	s_and_saveexec_b64 vcc, s[38:39]
	s_xor_b64 vcc, exec, vcc
	s_cbranch_execz .LBB12_674
; %bb.673:                              ;   in Loop: Header=BB12_77 Depth=1
	ds_write_b32 v0, v116
	s_trap 2
.LBB12_674:                             ;   in Loop: Header=BB12_77 Depth=1
	s_or_b64 exec, exec, s[34:35]
	;;#ASMSTART
	s_wakeup
	;;#ASMEND
.LBB12_675:                             ;   in Loop: Header=BB12_77 Depth=1
	s_or_b64 exec, exec, s[30:31]
.LBB12_676:                             ;   in Loop: Header=BB12_77 Depth=1
	s_andn2_saveexec_b64 s[94:95], s[94:95]
	s_cbranch_execz .LBB12_678
; %bb.677:                              ;   in Loop: Header=BB12_77 Depth=1
	s_waitcnt lgkmcnt(0)
	s_barrier
.LBB12_678:                             ;   in Loop: Header=BB12_77 Depth=1
	s_or_b64 exec, exec, s[94:95]
.LBB12_679:                             ;   in Loop: Header=BB12_77 Depth=1
	s_or_b64 exec, exec, s[28:29]
	s_trap 2
	ds_read_b32 v85, v0
	v_and_b32_e32 v2, 0x4000, v114
	v_cmp_ne_u32_e32 vcc, 0, v2
	s_xor_b64 s[28:29], s[6:7], -1
	s_and_b64 s[94:95], s[28:29], vcc
	s_and_saveexec_b64 s[28:29], s[94:95]
	s_cbranch_execz .LBB12_751
; %bb.680:                              ;   in Loop: Header=BB12_77 Depth=1
	s_and_saveexec_b64 s[94:95], s[60:61]
	s_xor_b64 s[94:95], exec, s[94:95]
	s_cbranch_execz .LBB12_748
; %bb.681:                              ;   in Loop: Header=BB12_77 Depth=1
	s_and_saveexec_b64 s[30:31], s[16:17]
	s_cbranch_execz .LBB12_747
; %bb.682:                              ;   in Loop: Header=BB12_77 Depth=1
	s_mov_b64 s[36:37], exec
	v_mbcnt_lo_u32_b32 v2, s36, 0
	v_mbcnt_hi_u32_b32 v2, s37, v2
	v_cmp_eq_u32_e32 vcc, 0, v2
	s_waitcnt lgkmcnt(0)
	s_and_saveexec_b64 s[34:35], vcc
	s_cbranch_execz .LBB12_684
; %bb.683:                              ;   in Loop: Header=BB12_77 Depth=1
	s_bcnt1_i32_b64 vcc_lo, s[36:37]
	v_mov_b32_e32 v2, vcc_lo
	ds_add_u64 v0, v[2:3]
	s_trap 2
.LBB12_684:                             ;   in Loop: Header=BB12_77 Depth=1
	s_or_b64 exec, exec, s[34:35]
	s_trap 2
	ds_read_b64 v[10:11], v0
	s_waitcnt lgkmcnt(0)
	v_lshl_add_u64 v[26:27], v[26:27], 0, v[34:35]
	v_cmp_lt_u64_e32 vcc, v[10:11], v[26:27]
	s_and_saveexec_b64 s[34:35], vcc
	s_cbranch_execz .LBB12_746
; %bb.685:                              ;   in Loop: Header=BB12_77 Depth=1
	s_mov_b32 s54, 0
	s_mov_b64 s[36:37], 0
                                        ; implicit-def: $sgpr38_sgpr39
                                        ; implicit-def: $sgpr48_sgpr49
	s_branch .LBB12_687
.LBB12_686:                             ;   in Loop: Header=BB12_687 Depth=2
	s_or_b64 exec, exec, s[52:53]
	s_and_b64 vcc, exec, vcc
	s_or_b64 s[36:37], vcc, s[36:37]
	s_andn2_b64 vcc, s[38:39], exec
	s_and_b64 s[38:39], s[48:49], exec
	s_or_b64 s[38:39], vcc, s[38:39]
	s_andn2_b64 exec, exec, s[36:37]
	s_cbranch_execz .LBB12_744
.LBB12_687:                             ;   Parent Loop BB12_77 Depth=1
                                        ; =>  This Inner Loop Header: Depth=2
	s_add_i32 s54, s54, 1
	s_cmpk_lg_i32 s54, 0x2710
	s_cselect_b64 s[50:51], -1, 0
	s_and_b64 vcc, exec, s[50:51]
	s_cbranch_vccz .LBB12_689
; %bb.688:                              ;   in Loop: Header=BB12_687 Depth=2
	s_mov_b64 vcc, -1
	s_or_b64 s[48:49], s[48:49], exec
	s_and_saveexec_b64 s[52:53], s[50:51]
	s_cbranch_execz .LBB12_686
	s_branch .LBB12_690
.LBB12_689:                             ;   in Loop: Header=BB12_687 Depth=2
	s_trap 2
	ds_read_b64 v[10:11], v0
	s_andn2_b64 s[50:51], s[50:51], exec
	s_mov_b32 s54, 0
	s_waitcnt vmcnt(0) lgkmcnt(0)
	flat_load_dword v2, v[10:11] sc0 sc1
	s_waitcnt vmcnt(0) lgkmcnt(0)
	buffer_inv sc0 sc1
	v_cmp_eq_u32_e32 vcc, 0, v2
	s_and_b64 vcc, vcc, exec
	s_or_b64 s[50:51], s[50:51], vcc
	s_mov_b64 vcc, -1
	s_or_b64 s[48:49], s[48:49], exec
	s_and_saveexec_b64 s[52:53], s[50:51]
	s_cbranch_execz .LBB12_686
.LBB12_690:                             ;   in Loop: Header=BB12_687 Depth=2
	s_sleep 1
	s_trap 2
	ds_read_b64 v[10:11], v0
	s_waitcnt lgkmcnt(0)
	s_andn2_b64 s[48:49], s[48:49], exec
	v_cmp_ge_u64_e32 vcc, v[10:11], v[26:27]
	s_orn2_b64 vcc, vcc, exec
	s_branch .LBB12_686
.LBB12_691:                             ;   in Loop: Header=BB12_77 Depth=1
	s_or_b64 exec, exec, s[34:35]
	s_and_saveexec_b64 vcc, s[36:37]
	s_xor_b64 vcc, exec, vcc
	s_cbranch_execz .LBB12_693
; %bb.692:                              ;   in Loop: Header=BB12_77 Depth=1
	ds_write_b32 v0, v116
	s_trap 2
.LBB12_693:                             ;   in Loop: Header=BB12_77 Depth=1
	s_or_b64 exec, exec, s[30:31]
	;;#ASMSTART
	s_wakeup
	;;#ASMEND
.LBB12_694:                             ;   in Loop: Header=BB12_77 Depth=1
	s_or_b64 exec, exec, s[94:95]
.LBB12_695:                             ;   in Loop: Header=BB12_77 Depth=1
	s_andn2_saveexec_b64 s[92:93], s[92:93]
	s_cbranch_execz .LBB12_697
; %bb.696:                              ;   in Loop: Header=BB12_77 Depth=1
	s_waitcnt lgkmcnt(0)
	s_barrier
.LBB12_697:                             ;   in Loop: Header=BB12_77 Depth=1
	s_or_b64 exec, exec, s[92:93]
.LBB12_698:                             ;   in Loop: Header=BB12_77 Depth=1
	s_or_b64 exec, exec, s[40:41]
	s_trap 2
	ds_read_b64 v[10:11], v0
	v_min_i32_e32 v84, v84, v42
	s_waitcnt lgkmcnt(0)
	v_cmp_eq_u64_e32 vcc, 0, v[10:11]
	s_cbranch_vccnz .LBB12_732
; %bb.699:                              ;   in Loop: Header=BB12_77 Depth=1
	s_trap 2
	ds_read_b64 v[12:13], v0
	s_waitcnt lgkmcnt(0)
	v_cmp_eq_u64_e32 vcc, 0, v[12:13]
	s_cbranch_vccnz .LBB12_732
; %bb.700:                              ;   in Loop: Header=BB12_77 Depth=1
	s_mov_b64 s[40:41], -1
	s_and_saveexec_b64 s[92:93], s[18:19]
	s_cbranch_execz .LBB12_702
; %bb.701:                              ;   in Loop: Header=BB12_77 Depth=1
	ds_read_b32 v2, v0 offset:720
	s_waitcnt lgkmcnt(0)
	v_and_b32_e32 v2, 15, v2
	v_cmp_eq_u32_e32 vcc, 0, v2
	s_orn2_b64 s[40:41], vcc, exec
.LBB12_702:                             ;   in Loop: Header=BB12_77 Depth=1
	s_or_b64 exec, exec, s[92:93]
	s_and_saveexec_b64 s[92:93], s[22:23]
	s_cbranch_execz .LBB12_704
; %bb.703:                              ;   in Loop: Header=BB12_77 Depth=1
	ds_read_b32 v2, v0 offset:784
	s_waitcnt lgkmcnt(0)
	v_and_b32_e32 v2, 15, v2
	v_cmp_eq_u32_e32 vcc, 0, v2
	s_and_b64 s[94:95], s[40:41], vcc
	s_andn2_b64 s[40:41], s[40:41], exec
	s_and_b64 s[94:95], s[94:95], exec
	s_or_b64 s[40:41], s[40:41], s[94:95]
.LBB12_704:                             ;   in Loop: Header=BB12_77 Depth=1
	s_or_b64 exec, exec, s[92:93]
	v_cmp_eq_u32_e32 vcc, 0, v85
	s_xor_b64 s[40:41], s[40:41], -1
	v_cndmask_b32_e64 v85, 0, 1, s[40:41]
	v_cndmask_b32_e32 v2, 0, v84, vcc
	s_mov_b64 s[94:95], -1
	v_cmp_ne_u32_e32 vcc, 0, v85
	v_mov_b32_e32 v85, 0
	v_mov_b32_e32 v96, v2
	;; [unrolled: 1-line block ×4, first 2 shown]
	s_cbranch_vccnz .LBB12_718
; %bb.705:                              ;   in Loop: Header=BB12_77 Depth=1
	v_ashrrev_i32_e32 v85, 31, v2
	v_lshrrev_b32_e32 v85, 19, v85
	v_add_u32_e32 v85, v2, v85
	v_ashrrev_i32_e32 v85, 13, v85
	v_sub_u32_e32 v99, v85, v40
	v_cmp_lt_i32_e32 vcc, 0, v99
	s_and_saveexec_b64 s[92:93], vcc
	s_cbranch_execz .LBB12_709
; %bb.706:                              ;   in Loop: Header=BB12_77 Depth=1
	s_mov_b64 s[94:95], 0
	v_mov_b64_e32 v[86:87], v[12:13]
	v_mov_b64_e32 v[96:97], v[10:11]
.LBB12_707:                             ;   Parent Loop BB12_77 Depth=1
                                        ; =>  This Inner Loop Header: Depth=2
	v_lshl_add_u64 v[112:113], v[82:83], 0, v[96:97]
	global_load_dwordx4 v[100:103], v[112:113], off nt
	global_load_dwordx4 v[44:47], v[112:113], off offset:1024 nt
	global_load_dwordx4 v[58:61], v[112:113], off offset:2048 nt
	;; [unrolled: 1-line block ×3, first 2 shown]
	v_add_co_u32_e32 v112, vcc, 0x1000, v112
	v_sub_u32_e32 v99, v99, v34
	s_nop 0
	v_addc_co_u32_e32 v113, vcc, 0, v113, vcc
	global_load_dwordx4 v[76:79], v[112:113], off nt
	global_load_dwordx4 v[88:91], v[112:113], off offset:1024 nt
	global_load_dwordx4 v[92:95], v[112:113], off offset:2048 nt
	;; [unrolled: 1-line block ×3, first 2 shown]
	v_lshl_add_u64 v[112:113], v[82:83], 0, v[86:87]
	v_cmp_gt_i32_e64 s[40:41], 1, v99
	v_lshl_add_u64 v[96:97], v[96:97], 0, v[54:55]
	v_lshl_add_u64 v[86:87], v[86:87], 0, v[54:55]
	v_add_co_u32_e32 v62, vcc, 0x1000, v112
	s_or_b64 s[94:95], s[40:41], s[94:95]
	s_nop 0
	v_addc_co_u32_e32 v63, vcc, 0, v113, vcc
	s_waitcnt vmcnt(0)
	global_store_dwordx4 v[112:113], v[100:103], off
	global_store_dwordx4 v[112:113], v[44:47], off offset:1024
	global_store_dwordx4 v[112:113], v[58:61], off offset:2048
	global_store_dwordx4 v[112:113], v[72:75], off offset:3072
	global_store_dwordx4 v[62:63], v[76:79], off
	global_store_dwordx4 v[62:63], v[88:91], off offset:1024
	global_store_dwordx4 v[62:63], v[92:95], off offset:2048
	;; [unrolled: 1-line block ×3, first 2 shown]
	s_andn2_b64 exec, exec, s[94:95]
	s_cbranch_execnz .LBB12_707
; %bb.708:                              ;   in Loop: Header=BB12_77 Depth=1
	s_or_b64 exec, exec, s[94:95]
.LBB12_709:                             ;   in Loop: Header=BB12_77 Depth=1
	s_or_b64 exec, exec, s[92:93]
	v_lshlrev_b32_e32 v98, 13, v85
	v_cmp_ne_u32_e32 vcc, v2, v98
	s_mov_b64 s[94:95], 0
	v_mov_b32_e32 v85, 0
                                        ; implicit-def: $vgpr96
                                        ; implicit-def: $vgpr97
                                        ; implicit-def: $vgpr86
	s_and_saveexec_b64 s[92:93], vcc
	s_cbranch_execz .LBB12_717
; %bb.710:                              ;   in Loop: Header=BB12_77 Depth=1
	v_lshlrev_b32_e32 v85, 6, v99
	v_sub_u32_e32 v85, v41, v85
	v_sub_u32_e32 v87, v2, v98
	v_ashrrev_i32_e32 v86, 31, v85
	v_lshrrev_b32_e32 v86, 26, v86
	v_ashrrev_i32_e32 v97, 31, v87
	v_add_u32_e32 v86, v85, v86
	v_lshrrev_b32_e32 v97, 22, v97
	v_ashrrev_i32_e32 v96, 6, v86
	v_and_b32_e32 v86, 0xffffffc0, v86
	v_add_u32_e32 v97, v87, v97
	v_sub_u32_e32 v99, v85, v86
	v_and_b32_e32 v100, 0xfffffc00, v97
	v_lshlrev_b32_e32 v85, 4, v99
	v_sub_u32_e32 v102, v87, v100
	v_lshl_add_u32 v86, v96, 10, v85
	v_ashrrev_i32_e32 v101, 10, v97
	v_cmp_lt_i32_e32 vcc, 15, v102
	v_sub_u32_e32 v85, v87, v86
	s_nop 0
	v_addc_co_u32_e64 v87, s[40:41], 0, v101, vcc
	v_sub_u32_e32 v101, v87, v96
	v_cmp_lt_i32_e64 s[40:41], 15, v85
	s_and_saveexec_b64 s[94:95], s[40:41]
	s_cbranch_execz .LBB12_714
; %bb.711:                              ;   in Loop: Header=BB12_77 Depth=1
	v_add_u32_e32 v86, v86, v98
	v_ashrrev_i32_e32 v87, 31, v86
	s_mov_b64 s[30:31], 0
.LBB12_712:                             ;   Parent Loop BB12_77 Depth=1
                                        ; =>  This Inner Loop Header: Depth=2
	v_lshl_add_u64 v[96:97], v[10:11], 0, v[86:87]
	global_load_dwordx4 v[44:47], v[96:97], off nt
	v_sub_u32_e32 v85, v85, v119
	v_cmp_gt_i32_e64 s[40:41], 16, v85
	v_lshl_add_u64 v[96:97], v[12:13], 0, v[86:87]
	v_sub_u32_e32 v101, v101, v34
	v_lshl_add_u64 v[86:87], v[86:87], 0, v[70:71]
	s_or_b64 s[30:31], s[40:41], s[30:31]
	s_waitcnt vmcnt(0)
	global_store_dwordx4 v[96:97], v[44:47], off
	s_andn2_b64 exec, exec, s[30:31]
	s_cbranch_execnz .LBB12_712
; %bb.713:                              ;   in Loop: Header=BB12_77 Depth=1
	s_or_b64 exec, exec, s[30:31]
.LBB12_714:                             ;   in Loop: Header=BB12_77 Depth=1
	s_or_b64 exec, exec, s[94:95]
	v_and_b32_e32 v87, 15, v2
	v_cndmask_b32_e32 v96, v102, v87, vcc
	v_mov_b32_e32 v85, 0
	v_cmp_ne_u32_e64 s[40:41], 0, v96
	s_mov_b64 s[94:95], 0
                                        ; implicit-def: $vgpr97
                                        ; implicit-def: $vgpr86
	s_and_saveexec_b64 s[30:31], s[40:41]
	s_cbranch_execz .LBB12_716
; %bb.715:                              ;   in Loop: Header=BB12_77 Depth=1
	v_sub_u32_e32 v85, v102, v87
	v_cndmask_b32_e32 v85, 0, v85, vcc
	v_cmp_lt_i32_e32 vcc, 0, v101
	s_mov_b64 s[94:95], exec
	v_add3_u32 v85, v100, v98, v85
	v_cndmask_b32_e32 v86, 0, v34, vcc
	v_sub_u32_e32 v86, v86, v101
	v_lshl_add_u32 v97, v86, 6, v99
	v_ashrrev_i32_e32 v86, 31, v97
	v_lshrrev_b32_e32 v86, 26, v86
	v_add_u32_e32 v86, v97, v86
	v_ashrrev_i32_e32 v86, 6, v86
.LBB12_716:                             ;   in Loop: Header=BB12_77 Depth=1
	s_or_b64 exec, exec, s[30:31]
	s_and_b64 s[94:95], s[94:95], exec
.LBB12_717:                             ;   in Loop: Header=BB12_77 Depth=1
	s_or_b64 exec, exec, s[92:93]
.LBB12_718:                             ;   in Loop: Header=BB12_77 Depth=1
	s_and_saveexec_b64 s[40:41], s[94:95]
	s_cbranch_execz .LBB12_727
; %bb.719:                              ;   in Loop: Header=BB12_77 Depth=1
	v_ashrrev_i32_e32 v87, 31, v96
	v_lshrrev_b32_e32 v87, 21, v87
	v_add_u32_e32 v87, v96, v87
	v_ashrrev_i32_e32 v100, 11, v87
	v_sub_u32_e32 v98, v100, v86
	v_ashrrev_i32_e32 v87, 31, v97
	v_cmp_lt_i32_e32 vcc, 0, v98
	v_lshrrev_b32_e32 v99, 26, v87
	s_and_saveexec_b64 s[92:93], vcc
	s_cbranch_execz .LBB12_723
; %bb.720:                              ;   in Loop: Header=BB12_77 Depth=1
	v_add_u32_e32 v87, v97, v99
	v_and_b32_e32 v87, 0xffffffc0, v87
	v_sub_u32_e32 v87, v97, v87
	v_lshlrev_b32_e32 v86, 11, v86
	v_add3_u32 v86, v85, v87, v86
	v_ashrrev_i32_e32 v87, 31, v86
	s_mov_b64 s[94:95], 0
.LBB12_721:                             ;   Parent Loop BB12_77 Depth=1
                                        ; =>  This Inner Loop Header: Depth=2
	v_lshl_add_u64 v[102:103], v[86:87], 0, v[10:11]
	flat_load_ubyte v101, v[102:103] nt
	flat_load_ubyte v112, v[102:103] offset:64 nt
	flat_load_ubyte v113, v[102:103] offset:128 nt
	;; [unrolled: 1-line block ×31, first 2 shown]
	v_sub_u32_e32 v98, v98, v34
	v_cmp_gt_i32_e32 vcc, 1, v98
	v_lshl_add_u64 v[102:103], v[86:87], 0, v[12:13]
	v_lshl_add_u64 v[10:11], v[10:11], 0, v[50:51]
	;; [unrolled: 1-line block ×3, first 2 shown]
	s_or_b64 s[94:95], vcc, s[94:95]
	s_waitcnt vmcnt(0) lgkmcnt(0)
	flat_store_byte v[102:103], v101 nt
	flat_store_byte v[102:103], v112 offset:64 nt
	flat_store_byte v[102:103], v113 offset:128 nt
	;; [unrolled: 1-line block ×31, first 2 shown]
	s_andn2_b64 exec, exec, s[94:95]
	s_cbranch_execnz .LBB12_721
; %bb.722:                              ;   in Loop: Header=BB12_77 Depth=1
	s_or_b64 exec, exec, s[94:95]
.LBB12_723:                             ;   in Loop: Header=BB12_77 Depth=1
	s_or_b64 exec, exec, s[92:93]
	v_lshlrev_b32_e32 v10, 11, v100
	v_cmp_ne_u32_e32 vcc, v96, v10
	s_and_b64 exec, exec, vcc
	s_cbranch_execz .LBB12_727
; %bb.724:                              ;   in Loop: Header=BB12_77 Depth=1
	v_add_u32_e32 v11, v97, v99
	v_and_b32_e32 v11, 0xffffffc0, v11
	v_sub_u32_e32 v11, v97, v11
	v_lshlrev_b32_e32 v12, 6, v98
	v_sub_u32_e32 v11, v11, v12
	v_add_u32_e32 v12, v10, v11
	v_sub_u32_e32 v86, v96, v12
	v_cmp_lt_i32_e32 vcc, 0, v86
	s_and_b64 exec, exec, vcc
	s_cbranch_execz .LBB12_727
; %bb.725:                              ;   in Loop: Header=BB12_77 Depth=1
	s_trap 2
	ds_read_b64 v[10:11], v0
	v_add_u32_e32 v12, v12, v85
	v_ashrrev_i32_e32 v13, 31, v12
	s_mov_b64 s[92:93], 0
.LBB12_726:                             ;   Parent Loop BB12_77 Depth=1
                                        ; =>  This Inner Loop Header: Depth=2
	s_waitcnt lgkmcnt(0)
	v_lshl_add_u64 v[96:97], v[10:11], 0, v[12:13]
	flat_load_ubyte v85, v[96:97] nt
	v_sub_u32_e32 v86, v86, v115
	v_cmp_gt_i32_e32 vcc, 1, v86
	v_lshl_add_u64 v[12:13], v[12:13], 0, v[68:69]
	s_or_b64 s[92:93], vcc, s[92:93]
	s_waitcnt vmcnt(0) lgkmcnt(0)
	flat_store_byte v[96:97], v85 nt
	s_andn2_b64 exec, exec, s[92:93]
	s_cbranch_execnz .LBB12_726
.LBB12_727:                             ;   in Loop: Header=BB12_77 Depth=1
	s_or_b64 exec, exec, s[40:41]
	v_cmp_lt_i32_e64 s[40:41], 0, v2
	s_and_saveexec_b64 s[92:93], s[10:11]
	s_cbranch_execnz .LBB12_733
.LBB12_728:                             ;   in Loop: Header=BB12_77 Depth=1
	s_or_b64 exec, exec, s[92:93]
	s_and_saveexec_b64 s[92:93], s[24:25]
	s_xor_b64 s[92:93], exec, s[92:93]
	s_cbranch_execz .LBB12_805
.LBB12_729:                             ;   in Loop: Header=BB12_77 Depth=1
	v_and_b32_e32 v2, 16, v114
	v_cmp_ne_u32_e32 vcc, 0, v2
	s_and_b64 s[94:95], vcc, s[40:41]
	s_and_saveexec_b64 s[40:41], s[94:95]
	s_cbranch_execz .LBB12_731
; %bb.730:                              ;   in Loop: Header=BB12_77 Depth=1
	buffer_wbl2 sc1
	s_waitcnt vmcnt(0) lgkmcnt(0)
	buffer_inv sc1
.LBB12_731:                             ;   in Loop: Header=BB12_77 Depth=1
	s_or_b64 exec, exec, s[40:41]
	s_andn2_saveexec_b64 s[40:41], s[92:93]
	s_cbranch_execz .LBB12_843
	s_branch .LBB12_806
.LBB12_732:                             ;   in Loop: Header=BB12_77 Depth=1
	s_mov_b64 s[40:41], 0
	s_and_saveexec_b64 s[92:93], s[10:11]
	s_cbranch_execz .LBB12_728
.LBB12_733:                             ;   in Loop: Header=BB12_77 Depth=1
	s_and_saveexec_b64 s[94:95], s[60:61]
	s_xor_b64 s[94:95], exec, s[94:95]
	s_cbranch_execz .LBB12_802
; %bb.734:                              ;   in Loop: Header=BB12_77 Depth=1
	s_and_saveexec_b64 s[30:31], s[16:17]
	s_cbranch_execz .LBB12_801
; %bb.735:                              ;   in Loop: Header=BB12_77 Depth=1
	s_mov_b64 s[36:37], exec
	v_mbcnt_lo_u32_b32 v2, s36, 0
	v_mbcnt_hi_u32_b32 v2, s37, v2
	v_cmp_eq_u32_e32 vcc, 0, v2
	s_waitcnt lgkmcnt(0)
	s_and_saveexec_b64 s[34:35], vcc
	s_cbranch_execz .LBB12_737
; %bb.736:                              ;   in Loop: Header=BB12_77 Depth=1
	s_bcnt1_i32_b64 vcc_lo, s[36:37]
	v_mov_b32_e32 v2, vcc_lo
	ds_add_u64 v0, v[2:3]
	s_trap 2
.LBB12_737:                             ;   in Loop: Header=BB12_77 Depth=1
	s_or_b64 exec, exec, s[34:35]
	s_trap 2
	ds_read_b64 v[10:11], v0
	s_waitcnt lgkmcnt(0)
	v_lshl_add_u64 v[26:27], v[26:27], 0, v[34:35]
	v_cmp_lt_u64_e32 vcc, v[10:11], v[26:27]
	s_and_saveexec_b64 s[34:35], vcc
	s_cbranch_execz .LBB12_800
; %bb.738:                              ;   in Loop: Header=BB12_77 Depth=1
	s_mov_b32 s54, 0
	s_mov_b64 s[36:37], 0
                                        ; implicit-def: $sgpr38_sgpr39
                                        ; implicit-def: $sgpr48_sgpr49
	s_branch .LBB12_740
.LBB12_739:                             ;   in Loop: Header=BB12_740 Depth=2
	s_or_b64 exec, exec, s[52:53]
	s_and_b64 vcc, exec, vcc
	s_or_b64 s[36:37], vcc, s[36:37]
	s_andn2_b64 vcc, s[38:39], exec
	s_and_b64 s[38:39], s[48:49], exec
	s_or_b64 s[38:39], vcc, s[38:39]
	s_andn2_b64 exec, exec, s[36:37]
	s_cbranch_execz .LBB12_798
.LBB12_740:                             ;   Parent Loop BB12_77 Depth=1
                                        ; =>  This Inner Loop Header: Depth=2
	s_add_i32 s54, s54, 1
	s_cmpk_lg_i32 s54, 0x2710
	s_cselect_b64 s[50:51], -1, 0
	s_and_b64 vcc, exec, s[50:51]
	s_cbranch_vccz .LBB12_742
; %bb.741:                              ;   in Loop: Header=BB12_740 Depth=2
	s_mov_b64 vcc, -1
	s_or_b64 s[48:49], s[48:49], exec
	s_and_saveexec_b64 s[52:53], s[50:51]
	s_cbranch_execz .LBB12_739
	s_branch .LBB12_743
.LBB12_742:                             ;   in Loop: Header=BB12_740 Depth=2
	s_trap 2
	ds_read_b64 v[10:11], v0
	s_andn2_b64 s[50:51], s[50:51], exec
	s_mov_b32 s54, 0
	s_waitcnt vmcnt(0) lgkmcnt(0)
	flat_load_dword v2, v[10:11] sc0 sc1
	s_waitcnt vmcnt(0) lgkmcnt(0)
	buffer_inv sc0 sc1
	v_cmp_eq_u32_e32 vcc, 0, v2
	s_and_b64 vcc, vcc, exec
	s_or_b64 s[50:51], s[50:51], vcc
	s_mov_b64 vcc, -1
	s_or_b64 s[48:49], s[48:49], exec
	s_and_saveexec_b64 s[52:53], s[50:51]
	s_cbranch_execz .LBB12_739
.LBB12_743:                             ;   in Loop: Header=BB12_740 Depth=2
	s_sleep 1
	s_trap 2
	ds_read_b64 v[10:11], v0
	s_waitcnt lgkmcnt(0)
	s_andn2_b64 s[48:49], s[48:49], exec
	v_cmp_ge_u64_e32 vcc, v[10:11], v[26:27]
	s_orn2_b64 vcc, vcc, exec
	s_branch .LBB12_739
.LBB12_744:                             ;   in Loop: Header=BB12_77 Depth=1
	s_or_b64 exec, exec, s[36:37]
	s_and_saveexec_b64 vcc, s[38:39]
	s_xor_b64 vcc, exec, vcc
	s_cbranch_execz .LBB12_746
; %bb.745:                              ;   in Loop: Header=BB12_77 Depth=1
	ds_write_b32 v0, v116
	s_trap 2
.LBB12_746:                             ;   in Loop: Header=BB12_77 Depth=1
	s_or_b64 exec, exec, s[34:35]
	;;#ASMSTART
	s_wakeup
	;;#ASMEND
.LBB12_747:                             ;   in Loop: Header=BB12_77 Depth=1
	s_or_b64 exec, exec, s[30:31]
.LBB12_748:                             ;   in Loop: Header=BB12_77 Depth=1
	s_andn2_saveexec_b64 s[94:95], s[94:95]
	s_cbranch_execz .LBB12_750
; %bb.749:                              ;   in Loop: Header=BB12_77 Depth=1
	s_waitcnt lgkmcnt(0)
	s_barrier
.LBB12_750:                             ;   in Loop: Header=BB12_77 Depth=1
	s_or_b64 exec, exec, s[94:95]
.LBB12_751:                             ;   in Loop: Header=BB12_77 Depth=1
	s_or_b64 exec, exec, s[28:29]
	s_trap 2
	ds_read_b64 v[10:11], v0
	s_waitcnt lgkmcnt(0)
	v_cmp_eq_u64_e32 vcc, 0, v[10:11]
	s_cbranch_vccnz .LBB12_786
; %bb.752:                              ;   in Loop: Header=BB12_77 Depth=1
	s_trap 2
	ds_read_b64 v[12:13], v0
	s_waitcnt lgkmcnt(0)
	v_cmp_eq_u64_e32 vcc, 0, v[12:13]
	s_cbranch_vccnz .LBB12_786
; %bb.753:                              ;   in Loop: Header=BB12_77 Depth=1
	s_mov_b64 s[28:29], -1
	s_and_saveexec_b64 s[94:95], s[22:23]
	s_cbranch_execz .LBB12_755
; %bb.754:                              ;   in Loop: Header=BB12_77 Depth=1
	ds_read_b32 v2, v0 offset:720
	s_waitcnt lgkmcnt(0)
	v_and_b32_e32 v2, 15, v2
	v_cmp_eq_u32_e32 vcc, 0, v2
	s_orn2_b64 s[28:29], vcc, exec
.LBB12_755:                             ;   in Loop: Header=BB12_77 Depth=1
	s_or_b64 exec, exec, s[94:95]
	s_and_saveexec_b64 s[94:95], s[18:19]
	s_cbranch_execz .LBB12_757
; %bb.756:                              ;   in Loop: Header=BB12_77 Depth=1
	ds_read_b32 v2, v0 offset:784
	s_waitcnt lgkmcnt(0)
	v_and_b32_e32 v2, 15, v2
	v_cmp_eq_u32_e32 vcc, 0, v2
	s_and_b64 vcc, s[28:29], vcc
	s_andn2_b64 s[28:29], s[28:29], exec
	s_and_b64 vcc, vcc, exec
	s_or_b64 s[28:29], s[28:29], vcc
.LBB12_757:                             ;   in Loop: Header=BB12_77 Depth=1
	s_or_b64 exec, exec, s[94:95]
	v_cmp_eq_u32_e32 vcc, 0, v85
	s_xor_b64 s[28:29], s[28:29], -1
	v_cndmask_b32_e64 v85, 0, 1, s[28:29]
	v_cndmask_b32_e32 v2, 0, v84, vcc
	s_mov_b64 s[30:31], -1
	v_cmp_ne_u32_e32 vcc, 0, v85
	v_mov_b32_e32 v85, 0
	v_mov_b32_e32 v96, v2
	;; [unrolled: 1-line block ×4, first 2 shown]
	s_cbranch_vccnz .LBB12_771
; %bb.758:                              ;   in Loop: Header=BB12_77 Depth=1
	v_ashrrev_i32_e32 v85, 31, v2
	v_lshrrev_b32_e32 v85, 19, v85
	v_add_u32_e32 v85, v2, v85
	v_ashrrev_i32_e32 v85, 13, v85
	v_sub_u32_e32 v99, v85, v40
	v_cmp_lt_i32_e32 vcc, 0, v99
	s_and_saveexec_b64 s[94:95], vcc
	s_cbranch_execz .LBB12_762
; %bb.759:                              ;   in Loop: Header=BB12_77 Depth=1
	s_mov_b64 s[30:31], 0
	v_mov_b64_e32 v[86:87], v[12:13]
	v_mov_b64_e32 v[96:97], v[10:11]
.LBB12_760:                             ;   Parent Loop BB12_77 Depth=1
                                        ; =>  This Inner Loop Header: Depth=2
	v_lshl_add_u64 v[112:113], v[82:83], 0, v[96:97]
	global_load_dwordx4 v[100:103], v[112:113], off nt
	global_load_dwordx4 v[44:47], v[112:113], off offset:1024 nt
	global_load_dwordx4 v[58:61], v[112:113], off offset:2048 nt
	;; [unrolled: 1-line block ×3, first 2 shown]
	v_add_co_u32_e32 v112, vcc, 0x1000, v112
	v_sub_u32_e32 v99, v99, v34
	s_nop 0
	v_addc_co_u32_e32 v113, vcc, 0, v113, vcc
	global_load_dwordx4 v[76:79], v[112:113], off nt
	global_load_dwordx4 v[88:91], v[112:113], off offset:1024 nt
	global_load_dwordx4 v[92:95], v[112:113], off offset:2048 nt
	;; [unrolled: 1-line block ×3, first 2 shown]
	v_lshl_add_u64 v[112:113], v[82:83], 0, v[86:87]
	v_cmp_gt_i32_e64 s[28:29], 1, v99
	v_lshl_add_u64 v[96:97], v[96:97], 0, v[54:55]
	v_lshl_add_u64 v[86:87], v[86:87], 0, v[54:55]
	v_add_co_u32_e32 v62, vcc, 0x1000, v112
	s_or_b64 s[30:31], s[28:29], s[30:31]
	s_nop 0
	v_addc_co_u32_e32 v63, vcc, 0, v113, vcc
	s_waitcnt vmcnt(0)
	global_store_dwordx4 v[112:113], v[100:103], off
	global_store_dwordx4 v[112:113], v[44:47], off offset:1024
	global_store_dwordx4 v[112:113], v[58:61], off offset:2048
	global_store_dwordx4 v[112:113], v[72:75], off offset:3072
	global_store_dwordx4 v[62:63], v[76:79], off
	global_store_dwordx4 v[62:63], v[88:91], off offset:1024
	global_store_dwordx4 v[62:63], v[92:95], off offset:2048
	;; [unrolled: 1-line block ×3, first 2 shown]
	s_andn2_b64 exec, exec, s[30:31]
	s_cbranch_execnz .LBB12_760
; %bb.761:                              ;   in Loop: Header=BB12_77 Depth=1
	s_or_b64 exec, exec, s[30:31]
.LBB12_762:                             ;   in Loop: Header=BB12_77 Depth=1
	s_or_b64 exec, exec, s[94:95]
	v_lshlrev_b32_e32 v98, 13, v85
	v_cmp_ne_u32_e32 vcc, v2, v98
	s_mov_b64 s[30:31], 0
	v_mov_b32_e32 v85, 0
                                        ; implicit-def: $vgpr96
                                        ; implicit-def: $vgpr97
                                        ; implicit-def: $vgpr86
	s_and_saveexec_b64 s[94:95], vcc
	s_cbranch_execz .LBB12_770
; %bb.763:                              ;   in Loop: Header=BB12_77 Depth=1
	v_lshlrev_b32_e32 v85, 6, v99
	v_sub_u32_e32 v85, v41, v85
	v_sub_u32_e32 v87, v2, v98
	v_ashrrev_i32_e32 v86, 31, v85
	v_lshrrev_b32_e32 v86, 26, v86
	v_ashrrev_i32_e32 v97, 31, v87
	v_add_u32_e32 v86, v85, v86
	v_lshrrev_b32_e32 v97, 22, v97
	v_ashrrev_i32_e32 v96, 6, v86
	v_and_b32_e32 v86, 0xffffffc0, v86
	v_add_u32_e32 v97, v87, v97
	v_sub_u32_e32 v99, v85, v86
	v_and_b32_e32 v100, 0xfffffc00, v97
	v_lshlrev_b32_e32 v85, 4, v99
	v_sub_u32_e32 v102, v87, v100
	v_lshl_add_u32 v86, v96, 10, v85
	v_ashrrev_i32_e32 v101, 10, v97
	v_cmp_lt_i32_e32 vcc, 15, v102
	v_sub_u32_e32 v85, v87, v86
	s_nop 0
	v_addc_co_u32_e64 v87, s[28:29], 0, v101, vcc
	v_sub_u32_e32 v101, v87, v96
	v_cmp_lt_i32_e64 s[28:29], 15, v85
	s_and_saveexec_b64 s[30:31], s[28:29]
	s_cbranch_execz .LBB12_767
; %bb.764:                              ;   in Loop: Header=BB12_77 Depth=1
	v_add_u32_e32 v86, v86, v98
	v_ashrrev_i32_e32 v87, 31, v86
	s_mov_b64 s[34:35], 0
.LBB12_765:                             ;   Parent Loop BB12_77 Depth=1
                                        ; =>  This Inner Loop Header: Depth=2
	v_lshl_add_u64 v[96:97], v[10:11], 0, v[86:87]
	global_load_dwordx4 v[44:47], v[96:97], off nt
	v_sub_u32_e32 v85, v85, v119
	v_cmp_gt_i32_e64 s[28:29], 16, v85
	v_lshl_add_u64 v[96:97], v[12:13], 0, v[86:87]
	v_sub_u32_e32 v101, v101, v34
	v_lshl_add_u64 v[86:87], v[86:87], 0, v[70:71]
	s_or_b64 s[34:35], s[28:29], s[34:35]
	s_waitcnt vmcnt(0)
	global_store_dwordx4 v[96:97], v[44:47], off
	s_andn2_b64 exec, exec, s[34:35]
	s_cbranch_execnz .LBB12_765
; %bb.766:                              ;   in Loop: Header=BB12_77 Depth=1
	s_or_b64 exec, exec, s[34:35]
.LBB12_767:                             ;   in Loop: Header=BB12_77 Depth=1
	s_or_b64 exec, exec, s[30:31]
	v_and_b32_e32 v87, 15, v2
	v_cndmask_b32_e32 v96, v102, v87, vcc
	v_mov_b32_e32 v85, 0
	v_cmp_ne_u32_e64 s[28:29], 0, v96
	s_mov_b64 s[30:31], 0
                                        ; implicit-def: $vgpr97
                                        ; implicit-def: $vgpr86
	s_and_saveexec_b64 s[34:35], s[28:29]
	s_cbranch_execz .LBB12_769
; %bb.768:                              ;   in Loop: Header=BB12_77 Depth=1
	v_sub_u32_e32 v85, v102, v87
	v_cndmask_b32_e32 v85, 0, v85, vcc
	v_cmp_lt_i32_e32 vcc, 0, v101
	s_mov_b64 s[30:31], exec
	v_add3_u32 v85, v100, v98, v85
	v_cndmask_b32_e32 v86, 0, v34, vcc
	v_sub_u32_e32 v86, v86, v101
	v_lshl_add_u32 v97, v86, 6, v99
	v_ashrrev_i32_e32 v86, 31, v97
	v_lshrrev_b32_e32 v86, 26, v86
	v_add_u32_e32 v86, v97, v86
	v_ashrrev_i32_e32 v86, 6, v86
.LBB12_769:                             ;   in Loop: Header=BB12_77 Depth=1
	s_or_b64 exec, exec, s[34:35]
	s_and_b64 s[30:31], s[30:31], exec
.LBB12_770:                             ;   in Loop: Header=BB12_77 Depth=1
	s_or_b64 exec, exec, s[94:95]
.LBB12_771:                             ;   in Loop: Header=BB12_77 Depth=1
	s_and_saveexec_b64 s[28:29], s[30:31]
	s_cbranch_execz .LBB12_780
; %bb.772:                              ;   in Loop: Header=BB12_77 Depth=1
	v_ashrrev_i32_e32 v87, 31, v96
	v_lshrrev_b32_e32 v87, 21, v87
	v_add_u32_e32 v87, v96, v87
	v_ashrrev_i32_e32 v100, 11, v87
	v_sub_u32_e32 v98, v100, v86
	v_ashrrev_i32_e32 v87, 31, v97
	v_cmp_lt_i32_e32 vcc, 0, v98
	v_lshrrev_b32_e32 v99, 26, v87
	s_and_saveexec_b64 s[94:95], vcc
	s_cbranch_execz .LBB12_776
; %bb.773:                              ;   in Loop: Header=BB12_77 Depth=1
	v_add_u32_e32 v87, v97, v99
	v_and_b32_e32 v87, 0xffffffc0, v87
	v_sub_u32_e32 v87, v97, v87
	v_lshlrev_b32_e32 v86, 11, v86
	v_add3_u32 v86, v85, v87, v86
	v_ashrrev_i32_e32 v87, 31, v86
	s_mov_b64 s[30:31], 0
.LBB12_774:                             ;   Parent Loop BB12_77 Depth=1
                                        ; =>  This Inner Loop Header: Depth=2
	v_lshl_add_u64 v[102:103], v[86:87], 0, v[10:11]
	flat_load_ubyte v101, v[102:103] nt
	flat_load_ubyte v112, v[102:103] offset:64 nt
	flat_load_ubyte v113, v[102:103] offset:128 nt
	;; [unrolled: 1-line block ×31, first 2 shown]
	v_sub_u32_e32 v98, v98, v34
	v_cmp_gt_i32_e32 vcc, 1, v98
	v_lshl_add_u64 v[102:103], v[86:87], 0, v[12:13]
	v_lshl_add_u64 v[10:11], v[10:11], 0, v[50:51]
	;; [unrolled: 1-line block ×3, first 2 shown]
	s_or_b64 s[30:31], vcc, s[30:31]
	s_waitcnt vmcnt(0) lgkmcnt(0)
	flat_store_byte v[102:103], v101 nt
	flat_store_byte v[102:103], v112 offset:64 nt
	flat_store_byte v[102:103], v113 offset:128 nt
	;; [unrolled: 1-line block ×31, first 2 shown]
	s_andn2_b64 exec, exec, s[30:31]
	s_cbranch_execnz .LBB12_774
; %bb.775:                              ;   in Loop: Header=BB12_77 Depth=1
	s_or_b64 exec, exec, s[30:31]
.LBB12_776:                             ;   in Loop: Header=BB12_77 Depth=1
	s_or_b64 exec, exec, s[94:95]
	v_lshlrev_b32_e32 v10, 11, v100
	v_cmp_ne_u32_e32 vcc, v96, v10
	s_and_b64 exec, exec, vcc
	s_cbranch_execz .LBB12_780
; %bb.777:                              ;   in Loop: Header=BB12_77 Depth=1
	v_add_u32_e32 v11, v97, v99
	v_and_b32_e32 v11, 0xffffffc0, v11
	v_sub_u32_e32 v11, v97, v11
	v_lshlrev_b32_e32 v12, 6, v98
	v_sub_u32_e32 v11, v11, v12
	v_add_u32_e32 v12, v10, v11
	v_sub_u32_e32 v86, v96, v12
	v_cmp_lt_i32_e32 vcc, 0, v86
	s_and_b64 exec, exec, vcc
	s_cbranch_execz .LBB12_780
; %bb.778:                              ;   in Loop: Header=BB12_77 Depth=1
	s_trap 2
	ds_read_b64 v[10:11], v0
	v_add_u32_e32 v12, v12, v85
	v_ashrrev_i32_e32 v13, 31, v12
	s_mov_b64 s[94:95], 0
.LBB12_779:                             ;   Parent Loop BB12_77 Depth=1
                                        ; =>  This Inner Loop Header: Depth=2
	s_waitcnt lgkmcnt(0)
	v_lshl_add_u64 v[96:97], v[10:11], 0, v[12:13]
	flat_load_ubyte v85, v[96:97] nt
	v_sub_u32_e32 v86, v86, v115
	v_cmp_gt_i32_e32 vcc, 1, v86
	v_lshl_add_u64 v[12:13], v[12:13], 0, v[68:69]
	s_or_b64 s[94:95], vcc, s[94:95]
	s_waitcnt vmcnt(0) lgkmcnt(0)
	flat_store_byte v[96:97], v85 nt
	s_andn2_b64 exec, exec, s[94:95]
	s_cbranch_execnz .LBB12_779
.LBB12_780:                             ;   in Loop: Header=BB12_77 Depth=1
	s_or_b64 exec, exec, s[28:29]
	v_cmp_lt_i32_e64 s[28:29], 0, v2
	s_and_saveexec_b64 s[94:95], s[10:11]
	s_cbranch_execnz .LBB12_787
.LBB12_781:                             ;   in Loop: Header=BB12_77 Depth=1
	s_or_b64 exec, exec, s[94:95]
                                        ; implicit-def: $vgpr2
	s_and_saveexec_b64 s[94:95], s[24:25]
	s_xor_b64 s[94:95], exec, s[94:95]
	s_cbranch_execz .LBB12_824
.LBB12_782:                             ;   in Loop: Header=BB12_77 Depth=1
	v_and_b32_e32 v10, 16, v114
	v_cmp_ne_u32_e32 vcc, 0, v10
	v_and_b32_e32 v2, 16, v114
	s_and_b64 vcc, vcc, s[28:29]
	s_and_saveexec_b64 s[28:29], vcc
	s_cbranch_execz .LBB12_784
; %bb.783:                              ;   in Loop: Header=BB12_77 Depth=1
	v_mov_b32_e32 v2, 1
	buffer_wbl2 sc1
	s_waitcnt vmcnt(0) lgkmcnt(0)
	buffer_inv sc1
.LBB12_784:                             ;   in Loop: Header=BB12_77 Depth=1
	s_or_b64 exec, exec, s[28:29]
	s_andn2_saveexec_b64 s[28:29], s[94:95]
	s_cbranch_execnz .LBB12_825
.LBB12_785:                             ;   in Loop: Header=BB12_77 Depth=1
	s_or_b64 exec, exec, s[28:29]
	v_cmp_ne_u32_e32 vcc, 0, v2
	s_and_saveexec_b64 s[28:29], vcc
	s_cbranch_execnz .LBB12_892
	s_branch .LBB12_895
.LBB12_786:                             ;   in Loop: Header=BB12_77 Depth=1
	s_mov_b64 s[28:29], 0
	s_and_saveexec_b64 s[94:95], s[10:11]
	s_cbranch_execz .LBB12_781
.LBB12_787:                             ;   in Loop: Header=BB12_77 Depth=1
	s_and_saveexec_b64 vcc, s[60:61]
	s_xor_b64 s[30:31], exec, vcc
	s_cbranch_execz .LBB12_821
; %bb.788:                              ;   in Loop: Header=BB12_77 Depth=1
	s_and_saveexec_b64 s[34:35], s[16:17]
	s_cbranch_execz .LBB12_820
; %bb.789:                              ;   in Loop: Header=BB12_77 Depth=1
	s_mov_b64 s[38:39], exec
	v_mbcnt_lo_u32_b32 v2, s38, 0
	v_mbcnt_hi_u32_b32 v2, s39, v2
	v_cmp_eq_u32_e32 vcc, 0, v2
	s_waitcnt lgkmcnt(0)
	s_and_saveexec_b64 s[36:37], vcc
	s_cbranch_execz .LBB12_791
; %bb.790:                              ;   in Loop: Header=BB12_77 Depth=1
	s_bcnt1_i32_b64 vcc_lo, s[38:39]
	v_mov_b32_e32 v2, vcc_lo
	ds_add_u64 v0, v[2:3]
	s_trap 2
.LBB12_791:                             ;   in Loop: Header=BB12_77 Depth=1
	s_or_b64 exec, exec, s[36:37]
	s_trap 2
	ds_read_b64 v[10:11], v0
	s_waitcnt lgkmcnt(0)
	v_lshl_add_u64 v[26:27], v[26:27], 0, v[34:35]
	v_cmp_lt_u64_e32 vcc, v[10:11], v[26:27]
	s_and_saveexec_b64 s[36:37], vcc
	s_cbranch_execz .LBB12_819
; %bb.792:                              ;   in Loop: Header=BB12_77 Depth=1
	s_mov_b32 s64, 0
	s_mov_b64 s[38:39], 0
                                        ; implicit-def: $sgpr48_sgpr49
                                        ; implicit-def: $sgpr50_sgpr51
	s_branch .LBB12_794
.LBB12_793:                             ;   in Loop: Header=BB12_794 Depth=2
	s_or_b64 exec, exec, s[54:55]
	s_and_b64 vcc, exec, vcc
	s_or_b64 s[38:39], vcc, s[38:39]
	s_andn2_b64 vcc, s[48:49], exec
	s_and_b64 s[48:49], s[50:51], exec
	s_or_b64 s[48:49], vcc, s[48:49]
	s_andn2_b64 exec, exec, s[38:39]
	s_cbranch_execz .LBB12_817
.LBB12_794:                             ;   Parent Loop BB12_77 Depth=1
                                        ; =>  This Inner Loop Header: Depth=2
	s_add_i32 s64, s64, 1
	s_cmpk_lg_i32 s64, 0x2710
	s_cselect_b64 s[52:53], -1, 0
	s_and_b64 vcc, exec, s[52:53]
	s_cbranch_vccz .LBB12_796
; %bb.795:                              ;   in Loop: Header=BB12_794 Depth=2
	s_mov_b64 vcc, -1
	s_or_b64 s[50:51], s[50:51], exec
	s_and_saveexec_b64 s[54:55], s[52:53]
	s_cbranch_execz .LBB12_793
	s_branch .LBB12_797
.LBB12_796:                             ;   in Loop: Header=BB12_794 Depth=2
	s_trap 2
	ds_read_b64 v[10:11], v0
	s_andn2_b64 s[52:53], s[52:53], exec
	s_mov_b32 s64, 0
	s_waitcnt vmcnt(0) lgkmcnt(0)
	flat_load_dword v2, v[10:11] sc0 sc1
	s_waitcnt vmcnt(0) lgkmcnt(0)
	buffer_inv sc0 sc1
	v_cmp_eq_u32_e32 vcc, 0, v2
	s_and_b64 vcc, vcc, exec
	s_or_b64 s[52:53], s[52:53], vcc
	s_mov_b64 vcc, -1
	s_or_b64 s[50:51], s[50:51], exec
	s_and_saveexec_b64 s[54:55], s[52:53]
	s_cbranch_execz .LBB12_793
.LBB12_797:                             ;   in Loop: Header=BB12_794 Depth=2
	s_sleep 1
	s_trap 2
	ds_read_b64 v[10:11], v0
	s_waitcnt lgkmcnt(0)
	s_andn2_b64 s[50:51], s[50:51], exec
	v_cmp_ge_u64_e32 vcc, v[10:11], v[26:27]
	s_orn2_b64 vcc, vcc, exec
	s_branch .LBB12_793
.LBB12_798:                             ;   in Loop: Header=BB12_77 Depth=1
	s_or_b64 exec, exec, s[36:37]
	s_and_saveexec_b64 vcc, s[38:39]
	s_xor_b64 vcc, exec, vcc
	s_cbranch_execz .LBB12_800
; %bb.799:                              ;   in Loop: Header=BB12_77 Depth=1
	ds_write_b32 v0, v116
	s_trap 2
.LBB12_800:                             ;   in Loop: Header=BB12_77 Depth=1
	s_or_b64 exec, exec, s[34:35]
	;;#ASMSTART
	s_wakeup
	;;#ASMEND
.LBB12_801:                             ;   in Loop: Header=BB12_77 Depth=1
	s_or_b64 exec, exec, s[30:31]
.LBB12_802:                             ;   in Loop: Header=BB12_77 Depth=1
	s_andn2_saveexec_b64 s[94:95], s[94:95]
	s_cbranch_execz .LBB12_804
; %bb.803:                              ;   in Loop: Header=BB12_77 Depth=1
	s_waitcnt lgkmcnt(0)
	s_barrier
.LBB12_804:                             ;   in Loop: Header=BB12_77 Depth=1
	s_or_b64 exec, exec, s[94:95]
	s_or_b64 exec, exec, s[92:93]
	s_and_saveexec_b64 s[92:93], s[24:25]
	s_xor_b64 s[92:93], exec, s[92:93]
	s_cbranch_execnz .LBB12_729
.LBB12_805:                             ;   in Loop: Header=BB12_77 Depth=1
	s_andn2_saveexec_b64 s[40:41], s[92:93]
	s_cbranch_execz .LBB12_843
.LBB12_806:                             ;   in Loop: Header=BB12_77 Depth=1
	s_and_saveexec_b64 s[92:93], s[60:61]
	s_xor_b64 s[92:93], exec, s[92:93]
	s_cbranch_execz .LBB12_840
; %bb.807:                              ;   in Loop: Header=BB12_77 Depth=1
	s_and_saveexec_b64 s[94:95], s[16:17]
	s_cbranch_execz .LBB12_839
; %bb.808:                              ;   in Loop: Header=BB12_77 Depth=1
	s_mov_b64 s[34:35], exec
	v_mbcnt_lo_u32_b32 v2, s34, 0
	v_mbcnt_hi_u32_b32 v2, s35, v2
	v_cmp_eq_u32_e32 vcc, 0, v2
	;;#ASMSTART
	s_waitcnt lgkmcnt(0) vmcnt(0)
	;;#ASMEND
	s_and_saveexec_b64 s[30:31], vcc
	s_cbranch_execz .LBB12_810
; %bb.809:                              ;   in Loop: Header=BB12_77 Depth=1
	s_bcnt1_i32_b64 vcc_lo, s[34:35]
	v_mov_b32_e32 v2, vcc_lo
	s_waitcnt lgkmcnt(0)
	ds_add_u64 v0, v[2:3]
	s_trap 2
.LBB12_810:                             ;   in Loop: Header=BB12_77 Depth=1
	s_or_b64 exec, exec, s[30:31]
	s_trap 2
	ds_read_b64 v[10:11], v0
	s_waitcnt lgkmcnt(0)
	v_lshl_add_u64 v[26:27], v[26:27], 0, v[34:35]
	v_cmp_lt_u64_e32 vcc, v[10:11], v[26:27]
	s_and_saveexec_b64 s[30:31], vcc
	s_cbranch_execz .LBB12_838
; %bb.811:                              ;   in Loop: Header=BB12_77 Depth=1
	s_mov_b32 s52, 0
	s_mov_b64 s[34:35], 0
                                        ; implicit-def: $sgpr36_sgpr37
                                        ; implicit-def: $sgpr38_sgpr39
	s_branch .LBB12_813
.LBB12_812:                             ;   in Loop: Header=BB12_813 Depth=2
	s_or_b64 exec, exec, s[50:51]
	s_and_b64 vcc, exec, vcc
	s_or_b64 s[34:35], vcc, s[34:35]
	s_andn2_b64 vcc, s[36:37], exec
	s_and_b64 s[36:37], s[38:39], exec
	s_or_b64 s[36:37], vcc, s[36:37]
	s_andn2_b64 exec, exec, s[34:35]
	s_cbranch_execz .LBB12_836
.LBB12_813:                             ;   Parent Loop BB12_77 Depth=1
                                        ; =>  This Inner Loop Header: Depth=2
	s_add_i32 s52, s52, 1
	s_cmpk_lg_i32 s52, 0x2710
	s_cselect_b64 s[48:49], -1, 0
	s_and_b64 vcc, exec, s[48:49]
	s_cbranch_vccz .LBB12_815
; %bb.814:                              ;   in Loop: Header=BB12_813 Depth=2
	s_mov_b64 vcc, -1
	s_or_b64 s[38:39], s[38:39], exec
	s_and_saveexec_b64 s[50:51], s[48:49]
	s_cbranch_execz .LBB12_812
	s_branch .LBB12_816
.LBB12_815:                             ;   in Loop: Header=BB12_813 Depth=2
	s_trap 2
	ds_read_b64 v[10:11], v0
	s_andn2_b64 s[48:49], s[48:49], exec
	s_mov_b32 s52, 0
	s_waitcnt vmcnt(0) lgkmcnt(0)
	flat_load_dword v2, v[10:11] sc0 sc1
	s_waitcnt vmcnt(0) lgkmcnt(0)
	buffer_inv sc0 sc1
	v_cmp_eq_u32_e32 vcc, 0, v2
	s_and_b64 vcc, vcc, exec
	s_or_b64 s[48:49], s[48:49], vcc
	s_mov_b64 vcc, -1
	s_or_b64 s[38:39], s[38:39], exec
	s_and_saveexec_b64 s[50:51], s[48:49]
	s_cbranch_execz .LBB12_812
.LBB12_816:                             ;   in Loop: Header=BB12_813 Depth=2
	s_sleep 1
	s_trap 2
	ds_read_b64 v[10:11], v0
	s_waitcnt lgkmcnt(0)
	s_andn2_b64 s[38:39], s[38:39], exec
	v_cmp_ge_u64_e32 vcc, v[10:11], v[26:27]
	s_orn2_b64 vcc, vcc, exec
	s_branch .LBB12_812
.LBB12_817:                             ;   in Loop: Header=BB12_77 Depth=1
	s_or_b64 exec, exec, s[38:39]
	s_and_saveexec_b64 vcc, s[48:49]
	s_xor_b64 vcc, exec, vcc
	s_cbranch_execz .LBB12_819
; %bb.818:                              ;   in Loop: Header=BB12_77 Depth=1
	ds_write_b32 v0, v116
	s_trap 2
.LBB12_819:                             ;   in Loop: Header=BB12_77 Depth=1
	s_or_b64 exec, exec, s[36:37]
	;;#ASMSTART
	s_wakeup
	;;#ASMEND
.LBB12_820:                             ;   in Loop: Header=BB12_77 Depth=1
	s_or_b64 exec, exec, s[34:35]
.LBB12_821:                             ;   in Loop: Header=BB12_77 Depth=1
	s_andn2_saveexec_b64 vcc, s[30:31]
	s_cbranch_execz .LBB12_823
; %bb.822:                              ;   in Loop: Header=BB12_77 Depth=1
	s_waitcnt lgkmcnt(0)
	s_barrier
.LBB12_823:                             ;   in Loop: Header=BB12_77 Depth=1
	s_or_b64 exec, exec, vcc
	s_or_b64 exec, exec, s[94:95]
                                        ; implicit-def: $vgpr2
	s_and_saveexec_b64 s[94:95], s[24:25]
	s_xor_b64 s[94:95], exec, s[94:95]
	s_cbranch_execnz .LBB12_782
.LBB12_824:                             ;   in Loop: Header=BB12_77 Depth=1
	s_andn2_saveexec_b64 s[28:29], s[94:95]
	s_cbranch_execz .LBB12_785
.LBB12_825:                             ;   in Loop: Header=BB12_77 Depth=1
	s_and_saveexec_b64 s[94:95], s[60:61]
	s_xor_b64 s[94:95], exec, s[94:95]
	s_cbranch_execz .LBB12_889
; %bb.826:                              ;   in Loop: Header=BB12_77 Depth=1
	s_and_saveexec_b64 s[30:31], s[16:17]
	s_cbranch_execz .LBB12_888
; %bb.827:                              ;   in Loop: Header=BB12_77 Depth=1
	s_mov_b64 s[36:37], exec
	v_mbcnt_lo_u32_b32 v2, s36, 0
	v_mbcnt_hi_u32_b32 v2, s37, v2
	v_cmp_eq_u32_e32 vcc, 0, v2
	;;#ASMSTART
	s_waitcnt lgkmcnt(0) vmcnt(0)
	;;#ASMEND
	s_and_saveexec_b64 s[34:35], vcc
	s_cbranch_execz .LBB12_829
; %bb.828:                              ;   in Loop: Header=BB12_77 Depth=1
	s_bcnt1_i32_b64 vcc_lo, s[36:37]
	v_mov_b32_e32 v2, vcc_lo
	s_waitcnt lgkmcnt(0)
	ds_add_u64 v0, v[2:3]
	s_trap 2
.LBB12_829:                             ;   in Loop: Header=BB12_77 Depth=1
	s_or_b64 exec, exec, s[34:35]
	s_trap 2
	ds_read_b64 v[10:11], v0
	s_waitcnt lgkmcnt(0)
	v_lshl_add_u64 v[26:27], v[26:27], 0, v[34:35]
	v_cmp_lt_u64_e32 vcc, v[10:11], v[26:27]
	s_and_saveexec_b64 s[34:35], vcc
	s_cbranch_execz .LBB12_887
; %bb.830:                              ;   in Loop: Header=BB12_77 Depth=1
	s_mov_b32 s54, 0
	s_mov_b64 s[36:37], 0
                                        ; implicit-def: $sgpr38_sgpr39
                                        ; implicit-def: $sgpr48_sgpr49
	s_branch .LBB12_832
.LBB12_831:                             ;   in Loop: Header=BB12_832 Depth=2
	s_or_b64 exec, exec, s[52:53]
	s_and_b64 vcc, exec, vcc
	s_or_b64 s[36:37], vcc, s[36:37]
	s_andn2_b64 vcc, s[38:39], exec
	s_and_b64 s[38:39], s[48:49], exec
	s_or_b64 s[38:39], vcc, s[38:39]
	s_andn2_b64 exec, exec, s[36:37]
	s_cbranch_execz .LBB12_885
.LBB12_832:                             ;   Parent Loop BB12_77 Depth=1
                                        ; =>  This Inner Loop Header: Depth=2
	s_add_i32 s54, s54, 1
	s_cmpk_lg_i32 s54, 0x2710
	s_cselect_b64 s[50:51], -1, 0
	s_and_b64 vcc, exec, s[50:51]
	s_cbranch_vccz .LBB12_834
; %bb.833:                              ;   in Loop: Header=BB12_832 Depth=2
	s_mov_b64 vcc, -1
	s_or_b64 s[48:49], s[48:49], exec
	s_and_saveexec_b64 s[52:53], s[50:51]
	s_cbranch_execz .LBB12_831
	s_branch .LBB12_835
.LBB12_834:                             ;   in Loop: Header=BB12_832 Depth=2
	s_trap 2
	ds_read_b64 v[10:11], v0
	s_andn2_b64 s[50:51], s[50:51], exec
	s_mov_b32 s54, 0
	s_waitcnt vmcnt(0) lgkmcnt(0)
	flat_load_dword v2, v[10:11] sc0 sc1
	s_waitcnt vmcnt(0) lgkmcnt(0)
	buffer_inv sc0 sc1
	v_cmp_eq_u32_e32 vcc, 0, v2
	s_and_b64 vcc, vcc, exec
	s_or_b64 s[50:51], s[50:51], vcc
	s_mov_b64 vcc, -1
	s_or_b64 s[48:49], s[48:49], exec
	s_and_saveexec_b64 s[52:53], s[50:51]
	s_cbranch_execz .LBB12_831
.LBB12_835:                             ;   in Loop: Header=BB12_832 Depth=2
	s_sleep 1
	s_trap 2
	ds_read_b64 v[10:11], v0
	s_waitcnt lgkmcnt(0)
	s_andn2_b64 s[48:49], s[48:49], exec
	v_cmp_ge_u64_e32 vcc, v[10:11], v[26:27]
	s_orn2_b64 vcc, vcc, exec
	s_branch .LBB12_831
.LBB12_836:                             ;   in Loop: Header=BB12_77 Depth=1
	s_or_b64 exec, exec, s[34:35]
	s_and_saveexec_b64 vcc, s[36:37]
	s_xor_b64 vcc, exec, vcc
	s_cbranch_execz .LBB12_838
; %bb.837:                              ;   in Loop: Header=BB12_77 Depth=1
	ds_write_b32 v0, v116
	s_trap 2
.LBB12_838:                             ;   in Loop: Header=BB12_77 Depth=1
	s_or_b64 exec, exec, s[30:31]
	;;#ASMSTART
	s_wakeup
	;;#ASMEND
.LBB12_839:                             ;   in Loop: Header=BB12_77 Depth=1
	s_or_b64 exec, exec, s[94:95]
.LBB12_840:                             ;   in Loop: Header=BB12_77 Depth=1
	s_andn2_saveexec_b64 s[92:93], s[92:93]
	s_cbranch_execz .LBB12_842
; %bb.841:                              ;   in Loop: Header=BB12_77 Depth=1
	;;#ASMSTART
	s_waitcnt lgkmcnt(0) vmcnt(0)
	;;#ASMEND
	s_barrier
.LBB12_842:                             ;   in Loop: Header=BB12_77 Depth=1
	s_or_b64 exec, exec, s[92:93]
.LBB12_843:                             ;   in Loop: Header=BB12_77 Depth=1
	s_or_b64 exec, exec, s[40:41]
	v_and_b32_e32 v2, 32, v114
	v_cmp_ne_u32_e32 vcc, 0, v2
	s_and_saveexec_b64 s[40:41], vcc
	s_cbranch_execz .LBB12_845
; %bb.844:                              ;   in Loop: Header=BB12_77 Depth=1
	v_lshl_add_u64 v[8:9], v[8:9], 0, 1
	flat_store_dwordx2 v[20:21], v[8:9] sc0 sc1
.LBB12_845:                             ;   in Loop: Header=BB12_77 Depth=1
	s_or_b64 exec, exec, s[40:41]
	v_mov_b32_e32 v85, v84
.LBB12_846:                             ;   in Loop: Header=BB12_77 Depth=1
	s_or_b64 exec, exec, s[88:89]
	s_mov_b64 s[40:41], s[42:43]
	s_and_saveexec_b64 s[88:89], s[26:27]
	s_cbranch_execz .LBB12_995
; %bb.847:                              ;   in Loop: Header=BB12_77 Depth=1
	v_and_b32_e32 v2, 4, v114
	v_cmp_ne_u32_e32 vcc, 0, v2
	s_and_saveexec_b64 s[92:93], vcc
	s_cbranch_execz .LBB12_857
; %bb.848:                              ;   in Loop: Header=BB12_77 Depth=1
	v_lshl_add_u64 v[10:11], v[8:9], 0, 1
	s_waitcnt vmcnt(0) lgkmcnt(0)
	v_cmp_lt_u64_e32 vcc, v[32:33], v[10:11]
	s_and_saveexec_b64 s[94:95], vcc
	s_cbranch_execz .LBB12_872
; %bb.849:                              ;   in Loop: Header=BB12_77 Depth=1
	v_and_b32_e32 v2, 64, v114
	s_mov_b32 s66, 0
	v_cmp_eq_u32_e32 vcc, 0, v2
	s_mov_b64 s[30:31], 0
                                        ; implicit-def: $sgpr34_sgpr35
                                        ; implicit-def: $sgpr36_sgpr37
                                        ; implicit-def: $sgpr38_sgpr39
	s_branch .LBB12_853
.LBB12_850:                             ;   in Loop: Header=BB12_853 Depth=2
	s_waitcnt vmcnt(0) lgkmcnt(0)
	v_cmp_ge_u64_e64 s[40:41], v[32:33], v[10:11]
	s_or_b64 s[52:53], s[52:53], exec
	s_orn2_b64 s[50:51], s[40:41], exec
.LBB12_851:                             ;   in Loop: Header=BB12_853 Depth=2
	s_or_b64 exec, exec, s[64:65]
	s_andn2_b64 s[40:41], s[38:39], exec
	s_and_b64 s[38:39], s[52:53], exec
	s_or_b64 s[38:39], s[40:41], s[38:39]
	s_andn2_b64 s[40:41], s[36:37], exec
	s_and_b64 s[36:37], s[50:51], exec
	s_or_b64 s[36:37], s[40:41], s[36:37]
.LBB12_852:                             ;   in Loop: Header=BB12_853 Depth=2
	s_or_b64 exec, exec, s[48:49]
	s_and_b64 s[40:41], exec, s[36:37]
	s_or_b64 s[30:31], s[40:41], s[30:31]
	s_andn2_b64 s[40:41], s[34:35], exec
	s_and_b64 s[34:35], s[38:39], exec
	s_or_b64 s[34:35], s[40:41], s[34:35]
	s_andn2_b64 exec, exec, s[30:31]
	s_cbranch_execz .LBB12_869
.LBB12_853:                             ;   Parent Loop BB12_77 Depth=1
                                        ; =>  This Inner Loop Header: Depth=2
	s_sleep 1
	s_waitcnt vmcnt(0) lgkmcnt(0)
	flat_load_dwordx2 v[32:33], v[20:21] sc0 sc1
	s_or_b64 s[38:39], s[38:39], exec
	s_or_b64 s[36:37], s[36:37], exec
                                        ; implicit-def: $vgpr2
	s_and_saveexec_b64 s[48:49], vcc
	s_cbranch_execz .LBB12_852
; %bb.854:                              ;   in Loop: Header=BB12_853 Depth=2
	s_cmpk_lt_i32 s66, 0x270f
	s_cselect_b64 s[54:55], -1, 0
	s_cmpk_gt_i32 s66, 0x270e
	s_mov_b64 s[50:51], -1
	s_cbranch_scc0 .LBB12_856
; %bb.855:                              ;   in Loop: Header=BB12_853 Depth=2
	s_trap 2
	ds_read_b64 v[12:13], v0
	s_andn2_b64 s[54:55], s[54:55], exec
	s_mov_b32 s66, 0
	s_mov_b64 s[52:53], 0
	s_waitcnt vmcnt(0) lgkmcnt(0)
	flat_load_dword v2, v[12:13] sc0 sc1
	s_waitcnt vmcnt(0) lgkmcnt(0)
	buffer_inv sc0 sc1
	v_cmp_eq_u32_e64 s[40:41], 0, v2
	s_and_b64 s[40:41], s[40:41], exec
	s_or_b64 s[54:55], s[54:55], s[40:41]
	s_and_saveexec_b64 s[64:65], s[54:55]
	s_cbranch_execz .LBB12_851
	s_branch .LBB12_850
.LBB12_856:                             ;   in Loop: Header=BB12_853 Depth=2
	s_add_i32 s66, s66, 1
	s_mov_b64 s[52:53], -1
                                        ; implicit-def: $vgpr2
	s_and_saveexec_b64 s[64:65], s[54:55]
	s_cbranch_execz .LBB12_851
	s_branch .LBB12_850
.LBB12_857:                             ;   in Loop: Header=BB12_77 Depth=1
	s_or_b64 exec, exec, s[92:93]
	s_and_saveexec_b64 s[40:41], s[10:11]
	s_cbranch_execz .LBB12_881
.LBB12_858:                             ;   in Loop: Header=BB12_77 Depth=1
	s_and_saveexec_b64 s[92:93], s[60:61]
	s_xor_b64 s[92:93], exec, s[92:93]
	s_cbranch_execz .LBB12_947
; %bb.859:                              ;   in Loop: Header=BB12_77 Depth=1
	s_and_saveexec_b64 s[94:95], s[16:17]
	s_cbranch_execz .LBB12_946
; %bb.860:                              ;   in Loop: Header=BB12_77 Depth=1
	s_mov_b64 s[34:35], exec
	v_mbcnt_lo_u32_b32 v2, s34, 0
	v_mbcnt_hi_u32_b32 v2, s35, v2
	v_cmp_eq_u32_e32 vcc, 0, v2
	s_waitcnt lgkmcnt(0)
	s_and_saveexec_b64 s[30:31], vcc
	s_cbranch_execz .LBB12_862
; %bb.861:                              ;   in Loop: Header=BB12_77 Depth=1
	s_bcnt1_i32_b64 vcc_lo, s[34:35]
	v_mov_b32_e32 v2, vcc_lo
	ds_add_u64 v0, v[2:3]
	s_trap 2
.LBB12_862:                             ;   in Loop: Header=BB12_77 Depth=1
	s_or_b64 exec, exec, s[30:31]
	s_trap 2
	ds_read_b64 v[10:11], v0
	s_waitcnt lgkmcnt(0)
	v_lshl_add_u64 v[26:27], v[26:27], 0, v[34:35]
	v_cmp_lt_u64_e32 vcc, v[10:11], v[26:27]
	s_and_saveexec_b64 s[30:31], vcc
	s_cbranch_execz .LBB12_945
; %bb.863:                              ;   in Loop: Header=BB12_77 Depth=1
	s_mov_b32 s52, 0
	s_mov_b64 s[34:35], 0
                                        ; implicit-def: $sgpr36_sgpr37
                                        ; implicit-def: $sgpr38_sgpr39
	s_branch .LBB12_865
.LBB12_864:                             ;   in Loop: Header=BB12_865 Depth=2
	s_or_b64 exec, exec, s[50:51]
	s_and_b64 vcc, exec, vcc
	s_or_b64 s[34:35], vcc, s[34:35]
	s_andn2_b64 vcc, s[36:37], exec
	s_and_b64 s[36:37], s[38:39], exec
	s_or_b64 s[36:37], vcc, s[36:37]
	s_andn2_b64 exec, exec, s[34:35]
	s_cbranch_execz .LBB12_943
.LBB12_865:                             ;   Parent Loop BB12_77 Depth=1
                                        ; =>  This Inner Loop Header: Depth=2
	s_add_i32 s52, s52, 1
	s_cmpk_lg_i32 s52, 0x2710
	s_cselect_b64 s[48:49], -1, 0
	s_and_b64 vcc, exec, s[48:49]
	s_cbranch_vccz .LBB12_867
; %bb.866:                              ;   in Loop: Header=BB12_865 Depth=2
	s_mov_b64 vcc, -1
	s_or_b64 s[38:39], s[38:39], exec
	s_and_saveexec_b64 s[50:51], s[48:49]
	s_cbranch_execz .LBB12_864
	s_branch .LBB12_868
.LBB12_867:                             ;   in Loop: Header=BB12_865 Depth=2
	s_trap 2
	ds_read_b64 v[10:11], v0
	s_andn2_b64 s[48:49], s[48:49], exec
	s_mov_b32 s52, 0
	s_waitcnt vmcnt(0) lgkmcnt(0)
	flat_load_dword v2, v[10:11] sc0 sc1
	s_waitcnt vmcnt(0) lgkmcnt(0)
	buffer_inv sc0 sc1
	v_cmp_eq_u32_e32 vcc, 0, v2
	s_and_b64 vcc, vcc, exec
	s_or_b64 s[48:49], s[48:49], vcc
	s_mov_b64 vcc, -1
	s_or_b64 s[38:39], s[38:39], exec
	s_and_saveexec_b64 s[50:51], s[48:49]
	s_cbranch_execz .LBB12_864
.LBB12_868:                             ;   in Loop: Header=BB12_865 Depth=2
	s_sleep 1
	s_trap 2
	ds_read_b64 v[10:11], v0
	s_waitcnt lgkmcnt(0)
	s_andn2_b64 s[38:39], s[38:39], exec
	v_cmp_ge_u64_e32 vcc, v[10:11], v[26:27]
	s_orn2_b64 vcc, vcc, exec
	s_branch .LBB12_864
.LBB12_869:                             ;   in Loop: Header=BB12_77 Depth=1
	s_or_b64 exec, exec, s[30:31]
	s_xor_b64 s[40:41], s[34:35], -1
	s_and_saveexec_b64 vcc, s[40:41]
	s_xor_b64 s[40:41], exec, vcc
	s_cbranch_execz .LBB12_871
; %bb.870:                              ;   in Loop: Header=BB12_77 Depth=1
	v_or_b32_e32 v114, 64, v114
	s_waitcnt lgkmcnt(0)
	ds_write_b32 v0, v2
	s_trap 2
.LBB12_871:                             ;   in Loop: Header=BB12_77 Depth=1
	s_or_b64 exec, exec, s[40:41]
.LBB12_872:                             ;   in Loop: Header=BB12_77 Depth=1
	s_or_b64 exec, exec, s[94:95]
	v_and_b32_e32 v2, 0x100, v114
	v_cmp_ne_u32_e32 vcc, 0, v2
	v_and_b32_e32 v2, 7, v8
	s_mov_b64 s[40:41], -1
	;;#ASMSTART
	s_wakeup
	;;#ASMEND
                                        ; implicit-def: $vgpr8_vgpr9
	s_and_saveexec_b64 s[94:95], vcc
	s_cbranch_execz .LBB12_876
; %bb.873:                              ;   in Loop: Header=BB12_77 Depth=1
	v_mad_u64_u32 v[12:13], s[40:41], v2, 24, v[6:7]
	flat_load_dword v8, v[12:13]
	s_waitcnt vmcnt(0) lgkmcnt(0)
	v_cmp_ne_u32_e32 vcc, 1, v8
	v_cmp_eq_u32_e64 s[40:41], 1, v8
                                        ; implicit-def: $vgpr8_vgpr9
	s_and_saveexec_b64 s[30:31], s[40:41]
	s_cbranch_execz .LBB12_875
; %bb.874:                              ;   in Loop: Header=BB12_77 Depth=1
	flat_load_dword v8, v[12:13] offset:4 sc0 sc1
	s_waitcnt vmcnt(0) lgkmcnt(0)
	v_ashrrev_i32_e32 v9, 31, v8
.LBB12_875:                             ;   in Loop: Header=BB12_77 Depth=1
	s_or_b64 exec, exec, s[30:31]
	s_orn2_b64 s[40:41], vcc, exec
.LBB12_876:                             ;   in Loop: Header=BB12_77 Depth=1
	s_or_b64 exec, exec, s[94:95]
	s_and_saveexec_b64 s[94:95], s[40:41]
; %bb.877:                              ;   in Loop: Header=BB12_77 Depth=1
	v_mad_i64_i32 v[8:9], s[40:41], v2, v22, 0
; %bb.878:                              ;   in Loop: Header=BB12_77 Depth=1
	s_or_b64 exec, exec, s[94:95]
	v_and_b32_e32 v2, 0x2000, v114
	v_lshl_add_u64 v[8:9], v[24:25], 0, v[8:9]
	v_cmp_ne_u32_e32 vcc, 0, v2
	ds_write_b64 v0, v[8:9] offset:720
	s_and_saveexec_b64 s[40:41], vcc
	s_cbranch_execz .LBB12_880
; %bb.879:                              ;   in Loop: Header=BB12_77 Depth=1
	ds_read_b64 v[8:9], v0 offset:872
	s_waitcnt lgkmcnt(0)
	v_lshl_add_u64 v[8:9], v[8:9], 0, 1
	ds_write_b64 v0, v[8:9] offset:872
.LBB12_880:                             ;   in Loop: Header=BB12_77 Depth=1
	s_or_b64 exec, exec, s[40:41]
	v_mov_b64_e32 v[8:9], v[10:11]
	s_or_b64 exec, exec, s[92:93]
	s_and_saveexec_b64 s[40:41], s[10:11]
	s_cbranch_execnz .LBB12_858
.LBB12_881:                             ;   in Loop: Header=BB12_77 Depth=1
	s_or_b64 exec, exec, s[40:41]
	s_and_saveexec_b64 s[40:41], s[24:25]
	s_xor_b64 s[40:41], exec, s[40:41]
	s_cbranch_execz .LBB12_950
.LBB12_882:                             ;   in Loop: Header=BB12_77 Depth=1
	s_trap 2
	ds_read_b32 v2, v0
	v_sub_u32_e32 v10, v42, v85
	v_min_i32_e32 v10, v84, v10
	v_cmp_lt_i32_e32 vcc, 0, v10
	s_waitcnt lgkmcnt(0)
	v_readfirstlane_b32 s92, v2
	s_cmp_eq_u32 s92, 0
	s_cselect_b64 s[92:93], -1, 0
	v_and_b32_e32 v2, 16, v114
	s_and_b64 s[92:93], vcc, s[92:93]
	v_cmp_ne_u32_e32 vcc, 0, v2
	s_and_b64 s[94:95], vcc, s[92:93]
	s_and_saveexec_b64 s[92:93], s[94:95]
	s_cbranch_execz .LBB12_884
; %bb.883:                              ;   in Loop: Header=BB12_77 Depth=1
	buffer_wbl2 sc1
	s_waitcnt vmcnt(0)
	buffer_inv sc1
.LBB12_884:                             ;   in Loop: Header=BB12_77 Depth=1
	s_or_b64 exec, exec, s[92:93]
	s_andn2_saveexec_b64 s[40:41], s[40:41]
	s_cbranch_execz .LBB12_994
	s_branch .LBB12_951
.LBB12_885:                             ;   in Loop: Header=BB12_77 Depth=1
	s_or_b64 exec, exec, s[36:37]
	s_and_saveexec_b64 vcc, s[38:39]
	s_xor_b64 vcc, exec, vcc
	s_cbranch_execz .LBB12_887
; %bb.886:                              ;   in Loop: Header=BB12_77 Depth=1
	ds_write_b32 v0, v116
	s_trap 2
.LBB12_887:                             ;   in Loop: Header=BB12_77 Depth=1
	s_or_b64 exec, exec, s[34:35]
	;;#ASMSTART
	s_wakeup
	;;#ASMEND
.LBB12_888:                             ;   in Loop: Header=BB12_77 Depth=1
	s_or_b64 exec, exec, s[30:31]
.LBB12_889:                             ;   in Loop: Header=BB12_77 Depth=1
	s_andn2_saveexec_b64 s[94:95], s[94:95]
	s_cbranch_execz .LBB12_891
; %bb.890:                              ;   in Loop: Header=BB12_77 Depth=1
	;;#ASMSTART
	s_waitcnt lgkmcnt(0) vmcnt(0)
	;;#ASMEND
	s_barrier
.LBB12_891:                             ;   in Loop: Header=BB12_77 Depth=1
	s_or_b64 exec, exec, s[94:95]
	v_and_b32_e32 v2, 16, v114
	s_or_b64 exec, exec, s[28:29]
	v_cmp_ne_u32_e32 vcc, 0, v2
	s_and_saveexec_b64 s[28:29], vcc
	s_cbranch_execz .LBB12_895
.LBB12_892:                             ;   in Loop: Header=BB12_77 Depth=1
	s_and_saveexec_b64 s[94:95], s[14:15]
	s_cbranch_execz .LBB12_894
; %bb.893:                              ;   in Loop: Header=BB12_77 Depth=1
	flat_store_dword v[28:29], v116 sc0 sc1
.LBB12_894:                             ;   in Loop: Header=BB12_77 Depth=1
	s_or_b64 exec, exec, s[94:95]
	v_lshl_add_u64 v[8:9], v[8:9], 0, 1
	flat_store_dwordx2 v[20:21], v[8:9] sc0 sc1
.LBB12_895:                             ;   in Loop: Header=BB12_77 Depth=1
	s_or_b64 exec, exec, s[28:29]
	v_mov_b32_e32 v2, v84
.LBB12_896:                             ;   in Loop: Header=BB12_77 Depth=1
	s_or_b64 exec, exec, s[92:93]
	s_mov_b64 s[92:93], s[42:43]
	s_mov_b64 s[94:95], s[40:41]
	s_and_saveexec_b64 s[28:29], s[26:27]
	s_cbranch_execz .LBB12_983
; %bb.897:                              ;   in Loop: Header=BB12_77 Depth=1
	v_sub_u32_e32 v2, v42, v2
	v_min_i32_e32 v10, v84, v2
	v_and_b32_e32 v2, 8, v114
	v_cmp_ne_u32_e32 vcc, 0, v2
	s_and_saveexec_b64 s[92:93], vcc
	s_cbranch_execz .LBB12_907
; %bb.898:                              ;   in Loop: Header=BB12_77 Depth=1
	s_waitcnt vmcnt(0) lgkmcnt(0)
	v_lshl_add_u64 v[84:85], v[32:33], 0, 8
	v_lshl_add_u64 v[12:13], v[8:9], 0, 1
	v_cmp_lt_u64_e32 vcc, v[84:85], v[12:13]
	s_and_saveexec_b64 s[94:95], vcc
	s_cbranch_execz .LBB12_923
; %bb.899:                              ;   in Loop: Header=BB12_77 Depth=1
	v_and_b32_e32 v2, 64, v114
	s_mov_b32 s66, 0
	v_cmp_eq_u32_e32 vcc, 0, v2
	s_mov_b64 s[30:31], 0
                                        ; implicit-def: $sgpr34_sgpr35
                                        ; implicit-def: $sgpr36_sgpr37
                                        ; implicit-def: $sgpr38_sgpr39
	s_branch .LBB12_903
.LBB12_900:                             ;   in Loop: Header=BB12_903 Depth=2
	s_waitcnt vmcnt(0) lgkmcnt(0)
	v_lshl_add_u64 v[84:85], v[32:33], 0, 8
	v_cmp_ge_u64_e64 s[26:27], v[84:85], v[12:13]
	s_or_b64 s[52:53], s[52:53], exec
	s_orn2_b64 s[50:51], s[26:27], exec
.LBB12_901:                             ;   in Loop: Header=BB12_903 Depth=2
	s_or_b64 exec, exec, s[64:65]
	s_andn2_b64 s[26:27], s[38:39], exec
	s_and_b64 s[38:39], s[52:53], exec
	s_or_b64 s[38:39], s[26:27], s[38:39]
	s_andn2_b64 s[26:27], s[36:37], exec
	s_and_b64 s[36:37], s[50:51], exec
	s_or_b64 s[36:37], s[26:27], s[36:37]
.LBB12_902:                             ;   in Loop: Header=BB12_903 Depth=2
	s_or_b64 exec, exec, s[48:49]
	s_and_b64 s[26:27], exec, s[36:37]
	s_or_b64 s[30:31], s[26:27], s[30:31]
	s_andn2_b64 s[26:27], s[34:35], exec
	s_and_b64 s[34:35], s[38:39], exec
	s_or_b64 s[34:35], s[26:27], s[34:35]
	s_andn2_b64 exec, exec, s[30:31]
	s_cbranch_execz .LBB12_920
.LBB12_903:                             ;   Parent Loop BB12_77 Depth=1
                                        ; =>  This Inner Loop Header: Depth=2
	s_sleep 1
	s_waitcnt vmcnt(0) lgkmcnt(0)
	flat_load_dwordx2 v[32:33], v[20:21] sc0 sc1
	s_or_b64 s[38:39], s[38:39], exec
	s_or_b64 s[36:37], s[36:37], exec
                                        ; implicit-def: $vgpr2
	s_and_saveexec_b64 s[48:49], vcc
	s_cbranch_execz .LBB12_902
; %bb.904:                              ;   in Loop: Header=BB12_903 Depth=2
	s_cmpk_lt_i32 s66, 0x270f
	s_cselect_b64 s[54:55], -1, 0
	s_cmpk_gt_i32 s66, 0x270e
	s_mov_b64 s[50:51], -1
	s_cbranch_scc0 .LBB12_906
; %bb.905:                              ;   in Loop: Header=BB12_903 Depth=2
	s_trap 2
	ds_read_b64 v[84:85], v0
	s_andn2_b64 s[54:55], s[54:55], exec
	s_mov_b32 s66, 0
	s_mov_b64 s[52:53], 0
	s_waitcnt vmcnt(0) lgkmcnt(0)
	flat_load_dword v2, v[84:85] sc0 sc1
	s_waitcnt vmcnt(0) lgkmcnt(0)
	buffer_inv sc0 sc1
	v_cmp_eq_u32_e64 s[26:27], 0, v2
	s_and_b64 s[26:27], s[26:27], exec
	s_or_b64 s[54:55], s[54:55], s[26:27]
	s_and_saveexec_b64 s[64:65], s[54:55]
	s_cbranch_execz .LBB12_901
	s_branch .LBB12_900
.LBB12_906:                             ;   in Loop: Header=BB12_903 Depth=2
	s_add_i32 s66, s66, 1
	s_mov_b64 s[52:53], -1
                                        ; implicit-def: $vgpr2
	s_and_saveexec_b64 s[64:65], s[54:55]
	s_cbranch_execz .LBB12_901
	s_branch .LBB12_900
.LBB12_907:                             ;   in Loop: Header=BB12_77 Depth=1
	s_or_b64 exec, exec, s[92:93]
	s_and_saveexec_b64 s[26:27], s[10:11]
	s_cbranch_execnz .LBB12_932
.LBB12_908:                             ;   in Loop: Header=BB12_77 Depth=1
	s_or_b64 exec, exec, s[26:27]
                                        ; implicit-def: $vgpr2
	s_and_saveexec_b64 s[26:27], s[78:79]
	s_xor_b64 s[26:27], exec, s[26:27]
	s_cbranch_execz .LBB12_976
.LBB12_909:                             ;   in Loop: Header=BB12_77 Depth=1
	s_and_saveexec_b64 s[92:93], s[60:61]
	s_xor_b64 s[92:93], exec, s[92:93]
	s_cbranch_execz .LBB12_966
; %bb.910:                              ;   in Loop: Header=BB12_77 Depth=1
	s_and_saveexec_b64 s[94:95], s[16:17]
	s_cbranch_execz .LBB12_965
; %bb.911:                              ;   in Loop: Header=BB12_77 Depth=1
	s_mov_b64 s[34:35], exec
	v_mbcnt_lo_u32_b32 v2, s34, 0
	v_mbcnt_hi_u32_b32 v2, s35, v2
	v_cmp_eq_u32_e32 vcc, 0, v2
	;;#ASMSTART
	s_waitcnt lgkmcnt(0) vmcnt(0)
	;;#ASMEND
	s_and_saveexec_b64 s[30:31], vcc
	s_cbranch_execz .LBB12_913
; %bb.912:                              ;   in Loop: Header=BB12_77 Depth=1
	s_bcnt1_i32_b64 vcc_lo, s[34:35]
	v_mov_b32_e32 v2, vcc_lo
	s_waitcnt lgkmcnt(0)
	ds_add_u64 v0, v[2:3]
	s_trap 2
.LBB12_913:                             ;   in Loop: Header=BB12_77 Depth=1
	s_or_b64 exec, exec, s[30:31]
	s_trap 2
	ds_read_b64 v[10:11], v0
	s_waitcnt lgkmcnt(0)
	v_lshl_add_u64 v[26:27], v[26:27], 0, v[34:35]
	v_cmp_lt_u64_e32 vcc, v[10:11], v[26:27]
	s_and_saveexec_b64 s[30:31], vcc
	s_cbranch_execz .LBB12_964
; %bb.914:                              ;   in Loop: Header=BB12_77 Depth=1
	s_mov_b32 s52, 0
	s_mov_b64 s[34:35], 0
                                        ; implicit-def: $sgpr36_sgpr37
                                        ; implicit-def: $sgpr38_sgpr39
	s_branch .LBB12_916
.LBB12_915:                             ;   in Loop: Header=BB12_916 Depth=2
	s_or_b64 exec, exec, s[50:51]
	s_and_b64 vcc, exec, vcc
	s_or_b64 s[34:35], vcc, s[34:35]
	s_andn2_b64 vcc, s[36:37], exec
	s_and_b64 s[36:37], s[38:39], exec
	s_or_b64 s[36:37], vcc, s[36:37]
	s_andn2_b64 exec, exec, s[34:35]
	s_cbranch_execz .LBB12_962
.LBB12_916:                             ;   Parent Loop BB12_77 Depth=1
                                        ; =>  This Inner Loop Header: Depth=2
	s_add_i32 s52, s52, 1
	s_cmpk_lg_i32 s52, 0x2710
	s_cselect_b64 s[48:49], -1, 0
	s_and_b64 vcc, exec, s[48:49]
	s_cbranch_vccz .LBB12_918
; %bb.917:                              ;   in Loop: Header=BB12_916 Depth=2
	s_mov_b64 vcc, -1
	s_or_b64 s[38:39], s[38:39], exec
	s_and_saveexec_b64 s[50:51], s[48:49]
	s_cbranch_execz .LBB12_915
	s_branch .LBB12_919
.LBB12_918:                             ;   in Loop: Header=BB12_916 Depth=2
	s_trap 2
	ds_read_b64 v[10:11], v0
	s_andn2_b64 s[48:49], s[48:49], exec
	s_mov_b32 s52, 0
	s_waitcnt vmcnt(0) lgkmcnt(0)
	flat_load_dword v2, v[10:11] sc0 sc1
	s_waitcnt vmcnt(0) lgkmcnt(0)
	buffer_inv sc0 sc1
	v_cmp_eq_u32_e32 vcc, 0, v2
	s_and_b64 vcc, vcc, exec
	s_or_b64 s[48:49], s[48:49], vcc
	s_mov_b64 vcc, -1
	s_or_b64 s[38:39], s[38:39], exec
	s_and_saveexec_b64 s[50:51], s[48:49]
	s_cbranch_execz .LBB12_915
.LBB12_919:                             ;   in Loop: Header=BB12_916 Depth=2
	s_sleep 1
	s_trap 2
	ds_read_b64 v[10:11], v0
	s_waitcnt lgkmcnt(0)
	s_andn2_b64 s[38:39], s[38:39], exec
	v_cmp_ge_u64_e32 vcc, v[10:11], v[26:27]
	s_orn2_b64 vcc, vcc, exec
	s_branch .LBB12_915
.LBB12_920:                             ;   in Loop: Header=BB12_77 Depth=1
	s_or_b64 exec, exec, s[30:31]
	s_xor_b64 s[26:27], s[34:35], -1
	s_and_saveexec_b64 vcc, s[26:27]
	s_xor_b64 s[26:27], exec, vcc
	s_cbranch_execz .LBB12_922
; %bb.921:                              ;   in Loop: Header=BB12_77 Depth=1
	v_or_b32_e32 v114, 64, v114
	s_waitcnt lgkmcnt(0)
	ds_write_b32 v0, v2
	s_trap 2
.LBB12_922:                             ;   in Loop: Header=BB12_77 Depth=1
	s_or_b64 exec, exec, s[26:27]
.LBB12_923:                             ;   in Loop: Header=BB12_77 Depth=1
	s_or_b64 exec, exec, s[94:95]
	v_and_b32_e32 v2, 0x100, v114
	v_cmp_ne_u32_e32 vcc, 0, v2
	v_and_b32_e32 v2, 7, v8
	s_mov_b64 s[26:27], -1
	;;#ASMSTART
	s_wakeup
	;;#ASMEND
                                        ; implicit-def: $vgpr8_vgpr9
	s_and_saveexec_b64 s[94:95], vcc
	s_cbranch_execz .LBB12_927
; %bb.924:                              ;   in Loop: Header=BB12_77 Depth=1
	v_mad_u64_u32 v[84:85], s[26:27], v2, 24, v[6:7]
	flat_load_dword v8, v[84:85]
	v_ashrrev_i32_e32 v11, 31, v10
	flat_store_dwordx2 v[84:85], v[10:11] offset:8
	s_waitcnt vmcnt(0) lgkmcnt(0)
	v_cmp_ne_u32_e32 vcc, 1, v8
	v_cmp_eq_u32_e64 s[26:27], 1, v8
                                        ; implicit-def: $vgpr8_vgpr9
	s_and_saveexec_b64 s[30:31], s[26:27]
	s_cbranch_execz .LBB12_926
; %bb.925:                              ;   in Loop: Header=BB12_77 Depth=1
	flat_load_dword v8, v[84:85] offset:4 sc0 sc1
	s_waitcnt vmcnt(0) lgkmcnt(0)
	v_ashrrev_i32_e32 v9, 31, v8
.LBB12_926:                             ;   in Loop: Header=BB12_77 Depth=1
	s_or_b64 exec, exec, s[30:31]
	s_orn2_b64 s[26:27], vcc, exec
.LBB12_927:                             ;   in Loop: Header=BB12_77 Depth=1
	s_or_b64 exec, exec, s[94:95]
	s_and_saveexec_b64 s[94:95], s[26:27]
; %bb.928:                              ;   in Loop: Header=BB12_77 Depth=1
	v_mad_i64_i32 v[8:9], s[26:27], v2, v22, 0
; %bb.929:                              ;   in Loop: Header=BB12_77 Depth=1
	s_or_b64 exec, exec, s[94:95]
	v_and_b32_e32 v2, 0x2000, v114
	v_lshl_add_u64 v[8:9], v[24:25], 0, v[8:9]
	v_cmp_ne_u32_e32 vcc, 0, v2
	ds_write_b64 v0, v[8:9] offset:784
	s_and_saveexec_b64 s[26:27], vcc
	s_cbranch_execz .LBB12_931
; %bb.930:                              ;   in Loop: Header=BB12_77 Depth=1
	ds_read_b64 v[8:9], v0 offset:872
	s_waitcnt lgkmcnt(0)
	v_lshl_add_u64 v[8:9], v[8:9], 0, 1
	ds_write_b64 v0, v[8:9] offset:872
.LBB12_931:                             ;   in Loop: Header=BB12_77 Depth=1
	s_or_b64 exec, exec, s[26:27]
	v_mov_b64_e32 v[8:9], v[12:13]
	s_or_b64 exec, exec, s[92:93]
	s_and_saveexec_b64 s[26:27], s[10:11]
	s_cbranch_execz .LBB12_908
.LBB12_932:                             ;   in Loop: Header=BB12_77 Depth=1
	s_and_saveexec_b64 s[92:93], s[60:61]
	s_xor_b64 s[92:93], exec, s[92:93]
	s_cbranch_execz .LBB12_973
; %bb.933:                              ;   in Loop: Header=BB12_77 Depth=1
	s_and_saveexec_b64 s[94:95], s[16:17]
	s_cbranch_execz .LBB12_972
; %bb.934:                              ;   in Loop: Header=BB12_77 Depth=1
	s_mov_b64 s[34:35], exec
	v_mbcnt_lo_u32_b32 v2, s34, 0
	v_mbcnt_hi_u32_b32 v2, s35, v2
	v_cmp_eq_u32_e32 vcc, 0, v2
	s_waitcnt lgkmcnt(0)
	s_and_saveexec_b64 s[30:31], vcc
	s_cbranch_execz .LBB12_936
; %bb.935:                              ;   in Loop: Header=BB12_77 Depth=1
	s_bcnt1_i32_b64 vcc_lo, s[34:35]
	v_mov_b32_e32 v2, vcc_lo
	ds_add_u64 v0, v[2:3]
	s_trap 2
.LBB12_936:                             ;   in Loop: Header=BB12_77 Depth=1
	s_or_b64 exec, exec, s[30:31]
	s_trap 2
	ds_read_b64 v[12:13], v0
	s_waitcnt lgkmcnt(0)
	v_lshl_add_u64 v[26:27], v[26:27], 0, v[34:35]
	v_cmp_lt_u64_e32 vcc, v[12:13], v[26:27]
	s_and_saveexec_b64 s[30:31], vcc
	s_cbranch_execz .LBB12_971
; %bb.937:                              ;   in Loop: Header=BB12_77 Depth=1
	s_mov_b32 s52, 0
	s_mov_b64 s[34:35], 0
                                        ; implicit-def: $sgpr36_sgpr37
                                        ; implicit-def: $sgpr38_sgpr39
	s_branch .LBB12_939
.LBB12_938:                             ;   in Loop: Header=BB12_939 Depth=2
	s_or_b64 exec, exec, s[50:51]
	s_and_b64 vcc, exec, vcc
	s_or_b64 s[34:35], vcc, s[34:35]
	s_andn2_b64 vcc, s[36:37], exec
	s_and_b64 s[36:37], s[38:39], exec
	s_or_b64 s[36:37], vcc, s[36:37]
	s_andn2_b64 exec, exec, s[34:35]
	s_cbranch_execz .LBB12_969
.LBB12_939:                             ;   Parent Loop BB12_77 Depth=1
                                        ; =>  This Inner Loop Header: Depth=2
	s_add_i32 s52, s52, 1
	s_cmpk_lg_i32 s52, 0x2710
	s_cselect_b64 s[48:49], -1, 0
	s_and_b64 vcc, exec, s[48:49]
	s_cbranch_vccz .LBB12_941
; %bb.940:                              ;   in Loop: Header=BB12_939 Depth=2
	s_mov_b64 vcc, -1
	s_or_b64 s[38:39], s[38:39], exec
	s_and_saveexec_b64 s[50:51], s[48:49]
	s_cbranch_execz .LBB12_938
	s_branch .LBB12_942
.LBB12_941:                             ;   in Loop: Header=BB12_939 Depth=2
	s_trap 2
	ds_read_b64 v[12:13], v0
	s_andn2_b64 s[48:49], s[48:49], exec
	s_mov_b32 s52, 0
	s_waitcnt vmcnt(0) lgkmcnt(0)
	flat_load_dword v2, v[12:13] sc0 sc1
	s_waitcnt vmcnt(0) lgkmcnt(0)
	buffer_inv sc0 sc1
	v_cmp_eq_u32_e32 vcc, 0, v2
	s_and_b64 vcc, vcc, exec
	s_or_b64 s[48:49], s[48:49], vcc
	s_mov_b64 vcc, -1
	s_or_b64 s[38:39], s[38:39], exec
	s_and_saveexec_b64 s[50:51], s[48:49]
	s_cbranch_execz .LBB12_938
.LBB12_942:                             ;   in Loop: Header=BB12_939 Depth=2
	s_sleep 1
	s_trap 2
	ds_read_b64 v[12:13], v0
	s_waitcnt lgkmcnt(0)
	s_andn2_b64 s[38:39], s[38:39], exec
	v_cmp_ge_u64_e32 vcc, v[12:13], v[26:27]
	s_orn2_b64 vcc, vcc, exec
	s_branch .LBB12_938
.LBB12_943:                             ;   in Loop: Header=BB12_77 Depth=1
	s_or_b64 exec, exec, s[34:35]
	s_and_saveexec_b64 vcc, s[36:37]
	s_xor_b64 vcc, exec, vcc
	s_cbranch_execz .LBB12_945
; %bb.944:                              ;   in Loop: Header=BB12_77 Depth=1
	ds_write_b32 v0, v116
	s_trap 2
.LBB12_945:                             ;   in Loop: Header=BB12_77 Depth=1
	s_or_b64 exec, exec, s[30:31]
	;;#ASMSTART
	s_wakeup
	;;#ASMEND
.LBB12_946:                             ;   in Loop: Header=BB12_77 Depth=1
	s_or_b64 exec, exec, s[94:95]
.LBB12_947:                             ;   in Loop: Header=BB12_77 Depth=1
	s_andn2_saveexec_b64 s[92:93], s[92:93]
	s_cbranch_execz .LBB12_949
; %bb.948:                              ;   in Loop: Header=BB12_77 Depth=1
	s_waitcnt lgkmcnt(0)
	s_barrier
.LBB12_949:                             ;   in Loop: Header=BB12_77 Depth=1
	s_or_b64 exec, exec, s[92:93]
	s_or_b64 exec, exec, s[40:41]
	s_and_saveexec_b64 s[40:41], s[24:25]
	s_xor_b64 s[40:41], exec, s[40:41]
	s_cbranch_execnz .LBB12_882
.LBB12_950:                             ;   in Loop: Header=BB12_77 Depth=1
	s_andn2_saveexec_b64 s[40:41], s[40:41]
	s_cbranch_execz .LBB12_994
.LBB12_951:                             ;   in Loop: Header=BB12_77 Depth=1
	s_and_saveexec_b64 s[92:93], s[60:61]
	s_xor_b64 s[92:93], exec, s[92:93]
	s_cbranch_execz .LBB12_991
; %bb.952:                              ;   in Loop: Header=BB12_77 Depth=1
	s_and_saveexec_b64 s[94:95], s[16:17]
	s_cbranch_execz .LBB12_990
; %bb.953:                              ;   in Loop: Header=BB12_77 Depth=1
	s_mov_b64 s[34:35], exec
	v_mbcnt_lo_u32_b32 v2, s34, 0
	v_mbcnt_hi_u32_b32 v2, s35, v2
	v_cmp_eq_u32_e32 vcc, 0, v2
	;;#ASMSTART
	s_waitcnt lgkmcnt(0) vmcnt(0)
	;;#ASMEND
	s_and_saveexec_b64 s[30:31], vcc
	s_cbranch_execz .LBB12_955
; %bb.954:                              ;   in Loop: Header=BB12_77 Depth=1
	s_bcnt1_i32_b64 vcc_lo, s[34:35]
	v_mov_b32_e32 v2, vcc_lo
	s_waitcnt lgkmcnt(0)
	ds_add_u64 v0, v[2:3]
	s_trap 2
.LBB12_955:                             ;   in Loop: Header=BB12_77 Depth=1
	s_or_b64 exec, exec, s[30:31]
	s_trap 2
	ds_read_b64 v[10:11], v0
	s_waitcnt lgkmcnt(0)
	v_lshl_add_u64 v[26:27], v[26:27], 0, v[34:35]
	v_cmp_lt_u64_e32 vcc, v[10:11], v[26:27]
	s_and_saveexec_b64 s[30:31], vcc
	s_cbranch_execz .LBB12_989
; %bb.956:                              ;   in Loop: Header=BB12_77 Depth=1
	s_mov_b32 s52, 0
	s_mov_b64 s[34:35], 0
                                        ; implicit-def: $sgpr36_sgpr37
                                        ; implicit-def: $sgpr38_sgpr39
	s_branch .LBB12_958
.LBB12_957:                             ;   in Loop: Header=BB12_958 Depth=2
	s_or_b64 exec, exec, s[50:51]
	s_and_b64 vcc, exec, vcc
	s_or_b64 s[34:35], vcc, s[34:35]
	s_andn2_b64 vcc, s[36:37], exec
	s_and_b64 s[36:37], s[38:39], exec
	s_or_b64 s[36:37], vcc, s[36:37]
	s_andn2_b64 exec, exec, s[34:35]
	s_cbranch_execz .LBB12_987
.LBB12_958:                             ;   Parent Loop BB12_77 Depth=1
                                        ; =>  This Inner Loop Header: Depth=2
	s_add_i32 s52, s52, 1
	s_cmpk_lg_i32 s52, 0x2710
	s_cselect_b64 s[48:49], -1, 0
	s_and_b64 vcc, exec, s[48:49]
	s_cbranch_vccz .LBB12_960
; %bb.959:                              ;   in Loop: Header=BB12_958 Depth=2
	s_mov_b64 vcc, -1
	s_or_b64 s[38:39], s[38:39], exec
	s_and_saveexec_b64 s[50:51], s[48:49]
	s_cbranch_execz .LBB12_957
	s_branch .LBB12_961
.LBB12_960:                             ;   in Loop: Header=BB12_958 Depth=2
	s_trap 2
	ds_read_b64 v[10:11], v0
	s_andn2_b64 s[48:49], s[48:49], exec
	s_mov_b32 s52, 0
	s_waitcnt vmcnt(0) lgkmcnt(0)
	flat_load_dword v2, v[10:11] sc0 sc1
	s_waitcnt vmcnt(0) lgkmcnt(0)
	buffer_inv sc0 sc1
	v_cmp_eq_u32_e32 vcc, 0, v2
	s_and_b64 vcc, vcc, exec
	s_or_b64 s[48:49], s[48:49], vcc
	s_mov_b64 vcc, -1
	s_or_b64 s[38:39], s[38:39], exec
	s_and_saveexec_b64 s[50:51], s[48:49]
	s_cbranch_execz .LBB12_957
.LBB12_961:                             ;   in Loop: Header=BB12_958 Depth=2
	s_sleep 1
	s_trap 2
	ds_read_b64 v[10:11], v0
	s_waitcnt lgkmcnt(0)
	s_andn2_b64 s[38:39], s[38:39], exec
	v_cmp_ge_u64_e32 vcc, v[10:11], v[26:27]
	s_orn2_b64 vcc, vcc, exec
	s_branch .LBB12_957
.LBB12_962:                             ;   in Loop: Header=BB12_77 Depth=1
	s_or_b64 exec, exec, s[34:35]
	s_and_saveexec_b64 vcc, s[36:37]
	s_xor_b64 vcc, exec, vcc
	s_cbranch_execz .LBB12_964
; %bb.963:                              ;   in Loop: Header=BB12_77 Depth=1
	ds_write_b32 v0, v116
	s_trap 2
.LBB12_964:                             ;   in Loop: Header=BB12_77 Depth=1
	s_or_b64 exec, exec, s[30:31]
	;;#ASMSTART
	s_wakeup
	;;#ASMEND
.LBB12_965:                             ;   in Loop: Header=BB12_77 Depth=1
	s_or_b64 exec, exec, s[94:95]
.LBB12_966:                             ;   in Loop: Header=BB12_77 Depth=1
	s_andn2_saveexec_b64 s[92:93], s[92:93]
	s_cbranch_execz .LBB12_968
; %bb.967:                              ;   in Loop: Header=BB12_77 Depth=1
	;;#ASMSTART
	s_waitcnt lgkmcnt(0) vmcnt(0)
	;;#ASMEND
	s_barrier
.LBB12_968:                             ;   in Loop: Header=BB12_77 Depth=1
	s_or_b64 exec, exec, s[92:93]
	v_and_b32_e32 v2, 16, v114
                                        ; implicit-def: $vgpr10
	s_andn2_saveexec_b64 s[26:27], s[26:27]
	s_cbranch_execz .LBB12_980
	s_branch .LBB12_977
.LBB12_969:                             ;   in Loop: Header=BB12_77 Depth=1
	s_or_b64 exec, exec, s[34:35]
	s_and_saveexec_b64 vcc, s[36:37]
	s_xor_b64 vcc, exec, vcc
	s_cbranch_execz .LBB12_971
; %bb.970:                              ;   in Loop: Header=BB12_77 Depth=1
	ds_write_b32 v0, v116
	s_trap 2
.LBB12_971:                             ;   in Loop: Header=BB12_77 Depth=1
	s_or_b64 exec, exec, s[30:31]
	;;#ASMSTART
	s_wakeup
	;;#ASMEND
.LBB12_972:                             ;   in Loop: Header=BB12_77 Depth=1
	s_or_b64 exec, exec, s[94:95]
.LBB12_973:                             ;   in Loop: Header=BB12_77 Depth=1
	s_andn2_saveexec_b64 s[92:93], s[92:93]
	s_cbranch_execz .LBB12_975
; %bb.974:                              ;   in Loop: Header=BB12_77 Depth=1
	s_waitcnt lgkmcnt(0)
	s_barrier
.LBB12_975:                             ;   in Loop: Header=BB12_77 Depth=1
	s_or_b64 exec, exec, s[92:93]
	s_or_b64 exec, exec, s[26:27]
                                        ; implicit-def: $vgpr2
	s_and_saveexec_b64 s[26:27], s[78:79]
	s_xor_b64 s[26:27], exec, s[26:27]
	s_cbranch_execnz .LBB12_909
.LBB12_976:                             ;   in Loop: Header=BB12_77 Depth=1
	s_andn2_saveexec_b64 s[26:27], s[26:27]
	s_cbranch_execz .LBB12_980
.LBB12_977:                             ;   in Loop: Header=BB12_77 Depth=1
	s_trap 2
	ds_read_b32 v11, v0
	v_cmp_lt_i32_e32 vcc, 0, v10
	v_and_b32_e32 v10, 16, v114
	v_and_b32_e32 v2, 16, v114
	s_waitcnt lgkmcnt(0)
	v_readfirstlane_b32 s92, v11
	s_cmp_eq_u32 s92, 0
	s_cselect_b64 s[92:93], -1, 0
	s_and_b64 s[92:93], vcc, s[92:93]
	v_cmp_ne_u32_e32 vcc, 0, v10
	s_and_b64 s[94:95], vcc, s[92:93]
	s_and_saveexec_b64 s[92:93], s[94:95]
	s_cbranch_execz .LBB12_979
; %bb.978:                              ;   in Loop: Header=BB12_77 Depth=1
	v_mov_b32_e32 v2, 1
	buffer_wbl2 sc1
	s_waitcnt vmcnt(0)
	buffer_inv sc1
.LBB12_979:                             ;   in Loop: Header=BB12_77 Depth=1
	s_or_b64 exec, exec, s[92:93]
.LBB12_980:                             ;   in Loop: Header=BB12_77 Depth=1
	s_or_b64 exec, exec, s[26:27]
	v_cmp_ne_u32_e32 vcc, 0, v2
	s_mov_b64 s[26:27], s[42:43]
	s_mov_b64 s[92:93], s[40:41]
	s_and_saveexec_b64 s[94:95], vcc
; %bb.981:                              ;   in Loop: Header=BB12_77 Depth=1
	s_andn2_b64 s[26:27], s[40:41], exec
	s_and_b64 s[92:93], s[12:13], exec
	s_or_b64 s[92:93], s[26:27], s[92:93]
	s_andn2_b64 s[26:27], s[42:43], exec
	s_and_b64 vcc, s[14:15], exec
	s_or_b64 s[26:27], s[26:27], vcc
; %bb.982:                              ;   in Loop: Header=BB12_77 Depth=1
	s_or_b64 exec, exec, s[94:95]
	s_andn2_b64 s[94:95], s[40:41], exec
	s_and_b64 s[92:93], s[92:93], exec
	s_or_b64 s[94:95], s[94:95], s[92:93]
	s_andn2_b64 s[92:93], s[42:43], exec
	s_and_b64 s[26:27], s[26:27], exec
	s_or_b64 s[92:93], s[92:93], s[26:27]
.LBB12_983:                             ;   in Loop: Header=BB12_77 Depth=1
	s_or_b64 exec, exec, s[28:29]
	s_andn2_b64 s[26:27], s[40:41], exec
	s_and_b64 s[28:29], s[94:95], exec
	s_or_b64 s[40:41], s[26:27], s[28:29]
	s_andn2_b64 s[26:27], s[42:43], exec
	s_and_b64 s[28:29], s[92:93], exec
	s_or_b64 s[42:43], s[26:27], s[28:29]
.LBB12_984:                             ;   in Loop: Header=BB12_77 Depth=1
	s_or_b64 exec, exec, s[44:45]
	s_and_saveexec_b64 s[26:27], s[42:43]
	s_cbranch_execz .LBB12_986
; %bb.985:                              ;   in Loop: Header=BB12_77 Depth=1
	s_or_b64 s[40:41], s[40:41], exec
	flat_store_dword v[28:29], v116 sc0 sc1
.LBB12_986:                             ;   in Loop: Header=BB12_77 Depth=1
	s_or_b64 exec, exec, s[26:27]
	s_andn2_b64 s[26:27], s[88:89], exec
	s_and_b64 s[28:29], s[40:41], exec
	s_or_b64 s[88:89], s[26:27], s[28:29]
	s_or_b64 exec, exec, s[90:91]
	s_and_saveexec_b64 s[26:27], s[88:89]
	s_cbranch_execz .LBB12_76
	s_branch .LBB12_998
.LBB12_987:                             ;   in Loop: Header=BB12_77 Depth=1
	s_or_b64 exec, exec, s[34:35]
	s_and_saveexec_b64 vcc, s[36:37]
	s_xor_b64 vcc, exec, vcc
	s_cbranch_execz .LBB12_989
; %bb.988:                              ;   in Loop: Header=BB12_77 Depth=1
	ds_write_b32 v0, v116
	s_trap 2
.LBB12_989:                             ;   in Loop: Header=BB12_77 Depth=1
	s_or_b64 exec, exec, s[30:31]
	;;#ASMSTART
	s_wakeup
	;;#ASMEND
.LBB12_990:                             ;   in Loop: Header=BB12_77 Depth=1
	s_or_b64 exec, exec, s[94:95]
.LBB12_991:                             ;   in Loop: Header=BB12_77 Depth=1
	s_andn2_saveexec_b64 s[92:93], s[92:93]
	s_cbranch_execz .LBB12_993
; %bb.992:                              ;   in Loop: Header=BB12_77 Depth=1
	;;#ASMSTART
	s_waitcnt lgkmcnt(0) vmcnt(0)
	;;#ASMEND
	s_barrier
.LBB12_993:                             ;   in Loop: Header=BB12_77 Depth=1
	s_or_b64 exec, exec, s[92:93]
.LBB12_994:                             ;   in Loop: Header=BB12_77 Depth=1
	s_or_b64 exec, exec, s[40:41]
	v_and_b32_e32 v2, 32, v114
	v_cmp_ne_u32_e32 vcc, 0, v2
	s_andn2_b64 s[40:41], s[42:43], exec
	s_and_b64 s[92:93], vcc, exec
	s_or_b64 s[40:41], s[40:41], s[92:93]
.LBB12_995:                             ;   in Loop: Header=BB12_77 Depth=1
	s_or_b64 exec, exec, s[88:89]
	s_andn2_b64 s[42:43], s[42:43], exec
	s_and_b64 s[40:41], s[40:41], exec
	s_or_b64 s[42:43], s[42:43], s[40:41]
.LBB12_996:                             ;   in Loop: Header=BB12_77 Depth=1
	s_or_b64 exec, exec, s[44:45]
	s_and_b64 s[88:89], s[42:43], exec
                                        ; implicit-def: $vgpr84
                                        ; implicit-def: $vgpr42
                                        ; implicit-def: $vgpr10_vgpr11
	s_andn2_saveexec_b64 s[90:91], s[90:91]
	s_cbranch_execnz .LBB12_86
.LBB12_997:                             ;   in Loop: Header=BB12_77 Depth=1
	s_or_b64 exec, exec, s[90:91]
	s_and_saveexec_b64 s[26:27], s[88:89]
	s_cbranch_execz .LBB12_76
.LBB12_998:                             ;   in Loop: Header=BB12_77 Depth=1
	v_lshl_add_u64 v[8:9], v[8:9], 0, 1
	flat_store_dwordx2 v[20:21], v[8:9] sc0 sc1
	s_branch .LBB12_76
.LBB12_999:
	s_or_b64 exec, exec, s[72:73]
.LBB12_1000:
	s_or_b64 exec, exec, s[58:59]
	v_and_b32_e32 v0, 0x800, v114
	v_cmp_eq_u32_e32 vcc, 0, v0
	s_and_saveexec_b64 s[2:3], vcc
	s_cbranch_execz .LBB12_1033
; %bb.1001:
	v_and_b32_e32 v0, 48, v114
	v_cmp_ne_u32_e32 vcc, 0, v0
	s_and_saveexec_b64 s[0:1], vcc
	s_cbranch_execz .LBB12_1003
; %bb.1002:
	s_waitcnt lgkmcnt(0)
	flat_store_dwordx2 v[18:19], v[8:9] offset:104
.LBB12_1003:
	s_or_b64 exec, exec, s[0:1]
	s_movk_i32 s0, 0x88
	v_and_b32_e32 v0, 0x88, v114
	v_cmp_eq_u32_e32 vcc, s0, v0
	s_and_saveexec_b64 s[4:5], vcc
	s_cbranch_execz .LBB12_1013
; %bb.1004:
	s_waitcnt lgkmcnt(0)
	v_add_u32_e32 v0, -1, v8
	v_and_b32_e32 v0, 7, v0
	v_mad_u64_u32 v[0:1], s[0:1], v0, 24, v[6:7]
	flat_load_dwordx2 v[2:3], v[0:1] offset:8 sc0 sc1
	s_waitcnt vmcnt(0)
	v_and_b32_e32 v4, 64, v114
	v_cmp_eq_u32_e64 s[0:1], 0, v4
	s_mov_b32 s18, 0
	s_waitcnt lgkmcnt(0)
	v_cmp_ne_u64_e32 vcc, -1, v[2:3]
	s_and_b64 s[0:1], vcc, s[0:1]
	s_and_b64 exec, exec, s[0:1]
	s_cbranch_execz .LBB12_1013
; %bb.1005:
	s_mov_b64 s[0:1], 0
                                        ; implicit-def: $sgpr6_sgpr7
                                        ; implicit-def: $sgpr10_sgpr11
	s_branch .LBB12_1008
.LBB12_1006:                            ;   in Loop: Header=BB12_1008 Depth=1
	flat_load_dwordx2 v[4:5], v[0:1] offset:8 sc0 sc1
	s_waitcnt vmcnt(0)
	s_andn2_b64 s[10:11], s[10:11], exec
	s_waitcnt lgkmcnt(0)
	v_cmp_eq_u64_e32 vcc, -1, v[4:5]
	s_orn2_b64 s[14:15], vcc, exec
.LBB12_1007:                            ;   in Loop: Header=BB12_1008 Depth=1
	s_or_b64 exec, exec, s[16:17]
	s_and_b64 s[12:13], exec, s[14:15]
	s_or_b64 s[0:1], s[12:13], s[0:1]
	s_andn2_b64 s[6:7], s[6:7], exec
	s_and_b64 s[12:13], s[10:11], exec
	s_or_b64 s[6:7], s[6:7], s[12:13]
	s_andn2_b64 exec, exec, s[0:1]
	s_cbranch_execz .LBB12_1011
.LBB12_1008:                            ; =>This Inner Loop Header: Depth=1
	s_cmpk_lt_i32 s18, 0x270f
	s_cselect_b64 s[12:13], -1, 0
	s_and_b64 vcc, exec, s[12:13]
	s_cbranch_vccnz .LBB12_1010
; %bb.1009:                             ;   in Loop: Header=BB12_1008 Depth=1
	s_trap 2
	ds_read_b64 v[2:3], v0
	s_andn2_b64 s[12:13], s[12:13], exec
	s_mov_b32 s18, 0
	s_waitcnt lgkmcnt(0)
	flat_load_dword v2, v[2:3] sc0 sc1
	s_waitcnt vmcnt(0) lgkmcnt(0)
	buffer_inv sc0 sc1
	v_cmp_eq_u32_e32 vcc, 0, v2
	s_and_b64 s[14:15], vcc, exec
	s_or_b64 s[12:13], s[12:13], s[14:15]
	s_mov_b64 s[14:15], -1
	s_or_b64 s[10:11], s[10:11], exec
	s_and_saveexec_b64 s[16:17], s[12:13]
	s_cbranch_execz .LBB12_1007
	s_branch .LBB12_1006
.LBB12_1010:                            ;   in Loop: Header=BB12_1008 Depth=1
	s_add_i32 s18, s18, 1
                                        ; implicit-def: $vgpr2
	s_mov_b64 s[14:15], -1
	s_or_b64 s[10:11], s[10:11], exec
	s_and_saveexec_b64 s[16:17], s[12:13]
	s_cbranch_execz .LBB12_1007
	s_branch .LBB12_1006
.LBB12_1011:
	s_or_b64 exec, exec, s[0:1]
	s_and_saveexec_b64 s[0:1], s[6:7]
	s_xor_b64 s[0:1], exec, s[0:1]
	s_cbranch_execz .LBB12_1013
; %bb.1012:
	ds_write_b32 v0, v2
	s_trap 2
.LBB12_1013:
	s_or_b64 exec, exec, s[4:5]
	v_and_b32_e32 v0, 0x2000, v114
	v_cmp_ne_u32_e32 vcc, 0, v0
	s_and_saveexec_b64 s[0:1], vcc
	s_cbranch_execz .LBB12_1015
; %bb.1014:
	ds_read_b64 v[0:1], v0 offset:872
	s_waitcnt lgkmcnt(0)
	flat_store_dwordx2 v[16:17], v[0:1] offset:16
.LBB12_1015:
	s_or_b64 exec, exec, s[0:1]
	v_cmp_ne_u32_e32 vcc, 64, v23
	s_and_b64 exec, exec, vcc
	s_cbranch_execz .LBB12_1033
; %bb.1016:
	v_cmp_ne_u32_sdwa s[0:1], v23, v30 src0_sel:DWORD src1_sel:WORD_0
	s_and_saveexec_b64 s[4:5], s[0:1]
	s_xor_b64 s[0:1], exec, s[4:5]
	s_cbranch_execz .LBB12_1031
; %bb.1017:
	v_and_b32_e32 v0, 63, v31
	v_cmp_eq_u32_e32 vcc, 0, v0
	s_and_saveexec_b64 s[4:5], vcc
	s_cbranch_execz .LBB12_1030
; %bb.1018:
	s_mov_b64 s[10:11], exec
	v_mbcnt_lo_u32_b32 v0, s10, 0
	v_mbcnt_hi_u32_b32 v0, s11, v0
	v_cmp_eq_u32_e32 vcc, 0, v0
	s_waitcnt lgkmcnt(0)
	s_and_saveexec_b64 s[6:7], vcc
	s_cbranch_execz .LBB12_1020
; %bb.1019:
	s_bcnt1_i32_b64 s10, s[10:11]
	v_mov_b32_e32 v0, s10
	v_mov_b32_e32 v1, 0
	ds_add_u64 v0, v[0:1]
	s_trap 2
.LBB12_1020:
	s_or_b64 exec, exec, s[6:7]
	s_trap 2
	ds_read_b64 v[2:3], v0
	s_waitcnt lgkmcnt(0)
	v_lshrrev_b32_e32 v0, 6, v23
	v_mov_b32_e32 v1, 0
	v_lshl_add_u64 v[0:1], v[26:27], 0, v[0:1]
	v_cmp_lt_u64_e32 vcc, v[2:3], v[0:1]
	s_and_saveexec_b64 s[6:7], vcc
	s_cbranch_execz .LBB12_1029
; %bb.1021:
	s_mov_b32 s22, 0
	s_mov_b64 s[10:11], 0
                                        ; implicit-def: $sgpr12_sgpr13
                                        ; implicit-def: $sgpr14_sgpr15
	s_branch .LBB12_1023
.LBB12_1022:                            ;   in Loop: Header=BB12_1023 Depth=1
	s_or_b64 exec, exec, s[18:19]
	s_and_b64 s[16:17], exec, s[20:21]
	s_or_b64 s[10:11], s[16:17], s[10:11]
	s_andn2_b64 s[12:13], s[12:13], exec
	s_and_b64 s[16:17], s[14:15], exec
	s_or_b64 s[12:13], s[12:13], s[16:17]
	s_andn2_b64 exec, exec, s[10:11]
	s_cbranch_execz .LBB12_1027
.LBB12_1023:                            ; =>This Inner Loop Header: Depth=1
	s_add_i32 s22, s22, 1
	s_cmpk_lg_i32 s22, 0x2710
	s_cselect_b64 s[16:17], -1, 0
	s_and_b64 vcc, exec, s[16:17]
	s_cbranch_vccz .LBB12_1025
; %bb.1024:                             ;   in Loop: Header=BB12_1023 Depth=1
	s_mov_b64 s[20:21], -1
	s_or_b64 s[14:15], s[14:15], exec
	s_and_saveexec_b64 s[18:19], s[16:17]
	s_cbranch_execz .LBB12_1022
	s_branch .LBB12_1026
.LBB12_1025:                            ;   in Loop: Header=BB12_1023 Depth=1
	s_trap 2
	ds_read_b64 v[2:3], v0
	s_andn2_b64 s[16:17], s[16:17], exec
	s_mov_b32 s22, 0
	s_waitcnt vmcnt(0) lgkmcnt(0)
	flat_load_dword v2, v[2:3] sc0 sc1
	s_waitcnt vmcnt(0) lgkmcnt(0)
	buffer_inv sc0 sc1
	v_cmp_eq_u32_e32 vcc, 0, v2
	s_and_b64 s[18:19], vcc, exec
	s_or_b64 s[16:17], s[16:17], s[18:19]
	s_mov_b64 s[20:21], -1
	s_or_b64 s[14:15], s[14:15], exec
	s_and_saveexec_b64 s[18:19], s[16:17]
	s_cbranch_execz .LBB12_1022
.LBB12_1026:                            ;   in Loop: Header=BB12_1023 Depth=1
	s_sleep 1
	s_trap 2
	ds_read_b64 v[2:3], v0
	s_waitcnt lgkmcnt(0)
	s_andn2_b64 s[14:15], s[14:15], exec
	v_cmp_ge_u64_e32 vcc, v[2:3], v[0:1]
	s_orn2_b64 s[20:21], vcc, exec
	s_branch .LBB12_1022
.LBB12_1027:
	s_or_b64 exec, exec, s[10:11]
	s_and_saveexec_b64 s[10:11], s[12:13]
	s_xor_b64 s[10:11], exec, s[10:11]
	s_cbranch_execz .LBB12_1029
; %bb.1028:
	v_mov_b32_e32 v0, 1
	ds_write_b32 v0, v0
	s_trap 2
.LBB12_1029:
	s_or_b64 exec, exec, s[6:7]
	;;#ASMSTART
	s_wakeup
	;;#ASMEND
.LBB12_1030:
	s_or_b64 exec, exec, s[4:5]
.LBB12_1031:
	s_andn2_saveexec_b64 s[0:1], s[0:1]
	s_cbranch_execz .LBB12_1033
; %bb.1032:
	s_waitcnt lgkmcnt(0)
	s_barrier
.LBB12_1033:
	s_or_b64 exec, exec, s[2:3]
.LBB12_1034:
	s_andn2_saveexec_b64 s[22:23], s[56:57]
	s_cbranch_execz .LBB12_1036
; %bb.1035:
	s_getpc_b64 s[0:1]
	s_add_u32 s0, s0, __PRETTY_FUNCTION__._ZN10PrimitivesIa7FuncSumIaE12FanSymmetricILi1EELi0E11ProtoSimpleILi1ELi1ELi0ELi4ELi0ELi0EELi0ELb0ELi0ELi0ELi0EEC2EiiPKiS8_PKvPvmhhhP15ncclDevWorkCollP14ncclDevWorkP2pii@rel32@lo+4
	s_addc_u32 s1, s1, __PRETTY_FUNCTION__._ZN10PrimitivesIa7FuncSumIaE12FanSymmetricILi1EELi0E11ProtoSimpleILi1ELi1ELi0ELi4ELi0ELi0EELi0ELb0ELi0ELi0ELi0EEC2EiiPKiS8_PKvPvmhhhP15ncclDevWorkCollP14ncclDevWorkP2pii@rel32@hi+12
	s_getpc_b64 s[2:3]
	s_add_u32 s2, s2, __assert_fail@rel32@lo+4
	s_addc_u32 s3, s3, __assert_fail@rel32@hi+12
	v_mov_b32_e32 v0, s0
	v_mov_b32_e32 v1, s1
	s_swappc_b64 s[30:31], s[2:3]
	; divergent unreachable
.LBB12_1036:
	s_or_b64 exec, exec, s[22:23]
.LBB12_1037:
	s_or_b64 exec, exec, s[46:47]
	scratch_load_dword v109, off, s33       ; 4-byte Folded Reload
	scratch_load_dword v108, off, s33 offset:4 ; 4-byte Folded Reload
	scratch_load_dword v107, off, s33 offset:8 ; 4-byte Folded Reload
	;; [unrolled: 1-line block ×37, first 2 shown]
	v_readlane_b32 s30, v110, 23
	v_readlane_b32 s31, v110, 24
	;; [unrolled: 1-line block ×25, first 2 shown]
	s_mov_b32 s32, s33
	v_readlane_b32 s0, v110, 25
	s_or_saveexec_b64 s[2:3], -1
	scratch_load_dword v110, off, s33 offset:152 ; 4-byte Folded Reload
	s_mov_b64 exec, s[2:3]
	s_mov_b32 s33, s0
	s_waitcnt vmcnt(0) lgkmcnt(0)
	s_setpc_b64 s[30:31]
.Lfunc_end12:
	.size	_ZN12_GLOBAL__N_17runRingIa7FuncSumIaE11ProtoSimpleILi1ELi1ELi0ELi4ELi0ELi0EELi0ELi4ELi0EEEviiP15ncclDevWorkColl, .Lfunc_end12-_ZN12_GLOBAL__N_17runRingIa7FuncSumIaE11ProtoSimpleILi1ELi1ELi0ELi4ELi0ELi0EELi0ELi4ELi0EEEviiP15ncclDevWorkColl
                                        ; -- End function
	.set .L_ZN12_GLOBAL__N_17runRingIa7FuncSumIaE11ProtoSimpleILi1ELi1ELi0ELi4ELi0ELi0EELi0ELi4ELi0EEEviiP15ncclDevWorkColl.num_vgpr, max(120, .L__assert_fail.num_vgpr)
	.set .L_ZN12_GLOBAL__N_17runRingIa7FuncSumIaE11ProtoSimpleILi1ELi1ELi0ELi4ELi0ELi0EELi0ELi4ELi0EEEviiP15ncclDevWorkColl.num_agpr, max(0, .L__assert_fail.num_agpr)
	.set .L_ZN12_GLOBAL__N_17runRingIa7FuncSumIaE11ProtoSimpleILi1ELi1ELi0ELi4ELi0ELi0EELi0ELi4ELi0EEEviiP15ncclDevWorkColl.numbered_sgpr, max(96, .L__assert_fail.numbered_sgpr)
	.set .L_ZN12_GLOBAL__N_17runRingIa7FuncSumIaE11ProtoSimpleILi1ELi1ELi0ELi4ELi0ELi0EELi0ELi4ELi0EEEviiP15ncclDevWorkColl.num_named_barrier, max(0, .L__assert_fail.num_named_barrier)
	.set .L_ZN12_GLOBAL__N_17runRingIa7FuncSumIaE11ProtoSimpleILi1ELi1ELi0ELi4ELi0ELi0EELi0ELi4ELi0EEEviiP15ncclDevWorkColl.private_seg_size, 160+max(.L__assert_fail.private_seg_size)
	.set .L_ZN12_GLOBAL__N_17runRingIa7FuncSumIaE11ProtoSimpleILi1ELi1ELi0ELi4ELi0ELi0EELi0ELi4ELi0EEEviiP15ncclDevWorkColl.uses_vcc, or(1, .L__assert_fail.uses_vcc)
	.set .L_ZN12_GLOBAL__N_17runRingIa7FuncSumIaE11ProtoSimpleILi1ELi1ELi0ELi4ELi0ELi0EELi0ELi4ELi0EEEviiP15ncclDevWorkColl.uses_flat_scratch, or(0, .L__assert_fail.uses_flat_scratch)
	.set .L_ZN12_GLOBAL__N_17runRingIa7FuncSumIaE11ProtoSimpleILi1ELi1ELi0ELi4ELi0ELi0EELi0ELi4ELi0EEEviiP15ncclDevWorkColl.has_dyn_sized_stack, or(0, .L__assert_fail.has_dyn_sized_stack)
	.set .L_ZN12_GLOBAL__N_17runRingIa7FuncSumIaE11ProtoSimpleILi1ELi1ELi0ELi4ELi0ELi0EELi0ELi4ELi0EEEviiP15ncclDevWorkColl.has_recursion, or(1, .L__assert_fail.has_recursion)
	.set .L_ZN12_GLOBAL__N_17runRingIa7FuncSumIaE11ProtoSimpleILi1ELi1ELi0ELi4ELi0ELi0EELi0ELi4ELi0EEEviiP15ncclDevWorkColl.has_indirect_call, or(0, .L__assert_fail.has_indirect_call)
	.section	.AMDGPU.csdata,"",@progbits
; Function info:
; codeLenInByte = 34128
; TotalNumSgprs: 102
; NumVgprs: 120
; NumAgprs: 0
; TotalNumVgprs: 120
; ScratchSize: 224
; MemoryBound: 1
	.text
	.p2align	2                               ; -- Begin function _Z46ncclDevFunc_Broadcast_RING_SIMPLE_Sum_i8_0_0_4v
	.type	_Z46ncclDevFunc_Broadcast_RING_SIMPLE_Sum_i8_0_0_4v,@function
_Z46ncclDevFunc_Broadcast_RING_SIMPLE_Sum_i8_0_0_4v: ; @_Z46ncclDevFunc_Broadcast_RING_SIMPLE_Sum_i8_0_0_4v
; %bb.0:
	s_waitcnt vmcnt(0) expcnt(0) lgkmcnt(0)
	s_mov_b32 s0, s33
	s_mov_b32 s33, s32
	s_or_saveexec_b64 s[2:3], -1
	scratch_store_dword off, v43, s33 offset:16 ; 4-byte Folded Spill
	s_mov_b64 exec, s[2:3]
	v_writelane_b32 v43, s0, 31
	s_add_i32 s32, s32, 32
	scratch_store_dword off, v40, s33 offset:12 ; 4-byte Folded Spill
	scratch_store_dword off, v41, s33 offset:8 ; 4-byte Folded Spill
	;; [unrolled: 1-line block ×3, first 2 shown]
	scratch_store_dword off, v110, s33      ; 4-byte Folded Spill
	v_writelane_b32 v43, s34, 0
	v_writelane_b32 v43, s35, 1
	;; [unrolled: 1-line block ×30, first 2 shown]
	s_nop 1
	v_writelane_b32 v43, s31, 30
	s_trap 2
	ds_read_b32 v0, v0
	v_mov_b32_e32 v40, v31
	s_mov_b32 s81, s12
	s_mov_b64 s[82:83], s[8:9]
	s_waitcnt lgkmcnt(0)
	v_cmp_gt_i32_e32 vcc, 1, v0
	s_cbranch_vccnz .LBB13_8
; %bb.1:
	s_mov_b32 s86, 0
	v_and_b32_e32 v41, 0x3ff, v40
	v_mov_b32_e32 v42, 6
	s_branch .LBB13_3
.LBB13_2:                               ;   in Loop: Header=BB13_3 Depth=1
	s_or_b64 exec, exec, s[84:85]
	s_trap 2
	ds_read_b32 v0, v0
	s_add_i32 s86, s86, 1
	s_waitcnt lgkmcnt(0)
	v_cmp_lt_i32_e32 vcc, s86, v0
	s_cbranch_vccz .LBB13_8
.LBB13_3:                               ; =>This Inner Loop Header: Depth=1
	s_trap 2
	ds_read_b32 v0, v0
	s_cmp_eq_u32 s86, 0
	s_cbranch_scc1 .LBB13_6
; %bb.4:                                ;   in Loop: Header=BB13_3 Depth=1
	s_trap 2
	s_waitcnt lgkmcnt(0)
	ds_read_b32 v1, v0
	s_waitcnt lgkmcnt(0)
	v_xor_b32_e32 v1, v1, v0
	v_and_b32_e32 v1, 0xff0000, v1
	v_cmp_eq_u32_e32 vcc, 0, v1
	s_cbranch_vccnz .LBB13_6
; %bb.5:                                ;   in Loop: Header=BB13_3 Depth=1
	s_barrier
	ds_read_b32 v0, v0
.LBB13_6:                               ;   in Loop: Header=BB13_3 Depth=1
	s_waitcnt lgkmcnt(0)
	v_lshlrev_b32_sdwa v1, v42, v0 dst_sel:DWORD dst_unused:UNUSED_PAD src0_sel:DWORD src1_sel:BYTE_2
	v_cmp_lt_u32_e32 vcc, v41, v1
	s_and_saveexec_b64 s[84:85], vcc
	s_cbranch_execz .LBB13_2
; %bb.7:                                ;   in Loop: Header=BB13_3 Depth=1
	s_mov_b64 s[0:1], src_shared_base
	s_getpc_b64 s[2:3]
	s_add_u32 s2, s2, _ZN12_GLOBAL__N_17runRingIa7FuncSumIaE11ProtoSimpleILi1ELi1ELi0ELi4ELi0ELi0EELi0ELi4ELi0EEEviiP15ncclDevWorkColl@rel32@lo+4
	s_addc_u32 s3, s3, _ZN12_GLOBAL__N_17runRingIa7FuncSumIaE11ProtoSimpleILi1ELi1ELi0ELi4ELi0ELi0EELi0ELi4ELi0EEEviiP15ncclDevWorkColl@rel32@hi+12
	s_mov_b64 s[8:9], s[82:83]
	s_mov_b32 s12, s81
	v_mov_b32_e32 v31, v40
	v_mov_b32_e32 v0, v41
	;; [unrolled: 1-line block ×3, first 2 shown]
	s_swappc_b64 s[30:31], s[2:3]
	s_branch .LBB13_2
.LBB13_8:
	scratch_load_dword v110, off, s33       ; 4-byte Folded Reload
	scratch_load_dword v42, off, s33 offset:4 ; 4-byte Folded Reload
	scratch_load_dword v41, off, s33 offset:8 ; 4-byte Folded Reload
	;; [unrolled: 1-line block ×3, first 2 shown]
	v_readlane_b32 s30, v43, 29
	v_readlane_b32 s31, v43, 30
	;; [unrolled: 1-line block ×31, first 2 shown]
	s_mov_b32 s32, s33
	v_readlane_b32 s0, v43, 31
	s_or_saveexec_b64 s[2:3], -1
	scratch_load_dword v43, off, s33 offset:16 ; 4-byte Folded Reload
	s_mov_b64 exec, s[2:3]
	s_mov_b32 s33, s0
	s_waitcnt vmcnt(0)
	s_setpc_b64 s[30:31]
.Lfunc_end13:
	.size	_Z46ncclDevFunc_Broadcast_RING_SIMPLE_Sum_i8_0_0_4v, .Lfunc_end13-_Z46ncclDevFunc_Broadcast_RING_SIMPLE_Sum_i8_0_0_4v
                                        ; -- End function
	.set .L_Z46ncclDevFunc_Broadcast_RING_SIMPLE_Sum_i8_0_0_4v.num_vgpr, max(111, .L_ZN12_GLOBAL__N_17runRingIa7FuncSumIaE11ProtoSimpleILi1ELi1ELi0ELi4ELi0ELi0EELi0ELi4ELi0EEEviiP15ncclDevWorkColl.num_vgpr)
	.set .L_Z46ncclDevFunc_Broadcast_RING_SIMPLE_Sum_i8_0_0_4v.num_agpr, max(0, .L_ZN12_GLOBAL__N_17runRingIa7FuncSumIaE11ProtoSimpleILi1ELi1ELi0ELi4ELi0ELi0EELi0ELi4ELi0EEEviiP15ncclDevWorkColl.num_agpr)
	.set .L_Z46ncclDevFunc_Broadcast_RING_SIMPLE_Sum_i8_0_0_4v.numbered_sgpr, max(87, .L_ZN12_GLOBAL__N_17runRingIa7FuncSumIaE11ProtoSimpleILi1ELi1ELi0ELi4ELi0ELi0EELi0ELi4ELi0EEEviiP15ncclDevWorkColl.numbered_sgpr)
	.set .L_Z46ncclDevFunc_Broadcast_RING_SIMPLE_Sum_i8_0_0_4v.num_named_barrier, max(0, .L_ZN12_GLOBAL__N_17runRingIa7FuncSumIaE11ProtoSimpleILi1ELi1ELi0ELi4ELi0ELi0EELi0ELi4ELi0EEEviiP15ncclDevWorkColl.num_named_barrier)
	.set .L_Z46ncclDevFunc_Broadcast_RING_SIMPLE_Sum_i8_0_0_4v.private_seg_size, 32+max(.L_ZN12_GLOBAL__N_17runRingIa7FuncSumIaE11ProtoSimpleILi1ELi1ELi0ELi4ELi0ELi0EELi0ELi4ELi0EEEviiP15ncclDevWorkColl.private_seg_size)
	.set .L_Z46ncclDevFunc_Broadcast_RING_SIMPLE_Sum_i8_0_0_4v.uses_vcc, or(1, .L_ZN12_GLOBAL__N_17runRingIa7FuncSumIaE11ProtoSimpleILi1ELi1ELi0ELi4ELi0ELi0EELi0ELi4ELi0EEEviiP15ncclDevWorkColl.uses_vcc)
	.set .L_Z46ncclDevFunc_Broadcast_RING_SIMPLE_Sum_i8_0_0_4v.uses_flat_scratch, or(0, .L_ZN12_GLOBAL__N_17runRingIa7FuncSumIaE11ProtoSimpleILi1ELi1ELi0ELi4ELi0ELi0EELi0ELi4ELi0EEEviiP15ncclDevWorkColl.uses_flat_scratch)
	.set .L_Z46ncclDevFunc_Broadcast_RING_SIMPLE_Sum_i8_0_0_4v.has_dyn_sized_stack, or(0, .L_ZN12_GLOBAL__N_17runRingIa7FuncSumIaE11ProtoSimpleILi1ELi1ELi0ELi4ELi0ELi0EELi0ELi4ELi0EEEviiP15ncclDevWorkColl.has_dyn_sized_stack)
	.set .L_Z46ncclDevFunc_Broadcast_RING_SIMPLE_Sum_i8_0_0_4v.has_recursion, or(1, .L_ZN12_GLOBAL__N_17runRingIa7FuncSumIaE11ProtoSimpleILi1ELi1ELi0ELi4ELi0ELi0EELi0ELi4ELi0EEEviiP15ncclDevWorkColl.has_recursion)
	.set .L_Z46ncclDevFunc_Broadcast_RING_SIMPLE_Sum_i8_0_0_4v.has_indirect_call, or(0, .L_ZN12_GLOBAL__N_17runRingIa7FuncSumIaE11ProtoSimpleILi1ELi1ELi0ELi4ELi0ELi0EELi0ELi4ELi0EEEviiP15ncclDevWorkColl.has_indirect_call)
	.section	.AMDGPU.csdata,"",@progbits
; Function info:
; codeLenInByte = 880
; TotalNumSgprs: 102
; NumVgprs: 120
; NumAgprs: 0
; TotalNumVgprs: 120
; ScratchSize: 256
; MemoryBound: 0
	.text
	.p2alignl 6, 3212836864
	.fill 256, 4, 3212836864
	.section	.AMDGPU.gpr_maximums,"",@progbits
	.set amdgpu.max_num_vgpr, 120
	.set amdgpu.max_num_agpr, 0
	.set amdgpu.max_num_sgpr, 96
	.text
	.type	__const.__assert_fail.fmt,@object ; @__const.__assert_fail.fmt
	.section	.rodata.str1.16,"aMS",@progbits,1
	.p2align	4, 0x0
__const.__assert_fail.fmt:
	.asciz	"%s:%u: %s: Device-side assertion `%s' failed.\n"
	.size	__const.__assert_fail.fmt, 47

	.type	.str.5,@object                  ; @.str.5
	.section	.rodata.str1.1,"aMS",@progbits,1
.str.5:
	.asciz	"2*(nrecv+nsend) <= nthreads"
	.size	.str.5, 28

	.type	.str.6,@object                  ; @.str.6
.str.6:
	.asciz	"/root/src/amdgpu-assembly/repos/ROCm__rccl/hipify/src/device/prims_simple.h"
	.size	.str.6, 76

	.type	__PRETTY_FUNCTION__._ZN10PrimitivesIa7FuncSumIaE12FanSymmetricILi1EELi0E11ProtoSimpleILi1ELi1ELi0ELi1ELi0ELi0EELi0ELb0ELi0ELi0ELi0EEC2EiiPKiS8_PKvPvmhhhP15ncclDevWorkCollP14ncclDevWorkP2pii,@object ; @__PRETTY_FUNCTION__._ZN10PrimitivesIa7FuncSumIaE12FanSymmetricILi1EELi0E11ProtoSimpleILi1ELi1ELi0ELi1ELi0ELi0EELi0ELb0ELi0ELi0ELi0EEC2EiiPKiS8_PKvPvmhhhP15ncclDevWorkCollP14ncclDevWorkP2pii
__PRETTY_FUNCTION__._ZN10PrimitivesIa7FuncSumIaE12FanSymmetricILi1EELi0E11ProtoSimpleILi1ELi1ELi0ELi1ELi0ELi0EELi0ELb0ELi0ELi0ELi0EEC2EiiPKiS8_PKvPvmhhhP15ncclDevWorkCollP14ncclDevWorkP2pii:
	.asciz	"Primitives<signed char, FuncSum<signed char>, FanSymmetric<1>, 0, ProtoSimple<1, 1, 0, 1>, 0>::Primitives(int, int, const int *, const int *, const void *, void *, uint64_t, uint8_t, uint8_t, uint8_t, struct ncclDevWorkColl *, struct ncclDevWorkP2p *, int, int) [T = signed char, RedOp = FuncSum<signed char>, Fan = FanSymmetric<1>, Direct = 0, Proto = ProtoSimple<1, 1, 0, 1>, P2p = 0, isNetOffload = false, Metadata = 0, Pipeline = 0, useAcc = 0]"
	.size	__PRETTY_FUNCTION__._ZN10PrimitivesIa7FuncSumIaE12FanSymmetricILi1EELi0E11ProtoSimpleILi1ELi1ELi0ELi1ELi0ELi0EELi0ELb0ELi0ELi0ELi0EEC2EiiPKiS8_PKvPvmhhhP15ncclDevWorkCollP14ncclDevWorkP2pii, 449

	.type	__PRETTY_FUNCTION__._ZN10PrimitivesIa7FuncSumIaE12FanSymmetricILi1EELi0E11ProtoSimpleILi1ELi1ELi0ELi2ELi0ELi0EELi0ELb0ELi0ELi0ELi0EEC2EiiPKiS8_PKvPvmhhhP15ncclDevWorkCollP14ncclDevWorkP2pii,@object ; @__PRETTY_FUNCTION__._ZN10PrimitivesIa7FuncSumIaE12FanSymmetricILi1EELi0E11ProtoSimpleILi1ELi1ELi0ELi2ELi0ELi0EELi0ELb0ELi0ELi0ELi0EEC2EiiPKiS8_PKvPvmhhhP15ncclDevWorkCollP14ncclDevWorkP2pii
__PRETTY_FUNCTION__._ZN10PrimitivesIa7FuncSumIaE12FanSymmetricILi1EELi0E11ProtoSimpleILi1ELi1ELi0ELi2ELi0ELi0EELi0ELb0ELi0ELi0ELi0EEC2EiiPKiS8_PKvPvmhhhP15ncclDevWorkCollP14ncclDevWorkP2pii:
	.asciz	"Primitives<signed char, FuncSum<signed char>, FanSymmetric<1>, 0, ProtoSimple<1, 1, 0, 2>, 0>::Primitives(int, int, const int *, const int *, const void *, void *, uint64_t, uint8_t, uint8_t, uint8_t, struct ncclDevWorkColl *, struct ncclDevWorkP2p *, int, int) [T = signed char, RedOp = FuncSum<signed char>, Fan = FanSymmetric<1>, Direct = 0, Proto = ProtoSimple<1, 1, 0, 2>, P2p = 0, isNetOffload = false, Metadata = 0, Pipeline = 0, useAcc = 0]"
	.size	__PRETTY_FUNCTION__._ZN10PrimitivesIa7FuncSumIaE12FanSymmetricILi1EELi0E11ProtoSimpleILi1ELi1ELi0ELi2ELi0ELi0EELi0ELb0ELi0ELi0ELi0EEC2EiiPKiS8_PKvPvmhhhP15ncclDevWorkCollP14ncclDevWorkP2pii, 449

	.type	__PRETTY_FUNCTION__._ZN10PrimitivesIa7FuncSumIaE12FanSymmetricILi1EELi0E11ProtoSimpleILi1ELi1ELi0ELi4ELi0ELi0EELi0ELb0ELi0ELi0ELi0EEC2EiiPKiS8_PKvPvmhhhP15ncclDevWorkCollP14ncclDevWorkP2pii,@object ; @__PRETTY_FUNCTION__._ZN10PrimitivesIa7FuncSumIaE12FanSymmetricILi1EELi0E11ProtoSimpleILi1ELi1ELi0ELi4ELi0ELi0EELi0ELb0ELi0ELi0ELi0EEC2EiiPKiS8_PKvPvmhhhP15ncclDevWorkCollP14ncclDevWorkP2pii
__PRETTY_FUNCTION__._ZN10PrimitivesIa7FuncSumIaE12FanSymmetricILi1EELi0E11ProtoSimpleILi1ELi1ELi0ELi4ELi0ELi0EELi0ELb0ELi0ELi0ELi0EEC2EiiPKiS8_PKvPvmhhhP15ncclDevWorkCollP14ncclDevWorkP2pii:
	.asciz	"Primitives<signed char, FuncSum<signed char>, FanSymmetric<1>, 0, ProtoSimple<1, 1, 0, 4>, 0>::Primitives(int, int, const int *, const int *, const void *, void *, uint64_t, uint8_t, uint8_t, uint8_t, struct ncclDevWorkColl *, struct ncclDevWorkP2p *, int, int) [T = signed char, RedOp = FuncSum<signed char>, Fan = FanSymmetric<1>, Direct = 0, Proto = ProtoSimple<1, 1, 0, 4>, P2p = 0, isNetOffload = false, Metadata = 0, Pipeline = 0, useAcc = 0]"
	.size	__PRETTY_FUNCTION__._ZN10PrimitivesIa7FuncSumIaE12FanSymmetricILi1EELi0E11ProtoSimpleILi1ELi1ELi0ELi4ELi0ELi0EELi0ELb0ELi0ELi0ELi0EEC2EiiPKiS8_PKvPvmhhhP15ncclDevWorkCollP14ncclDevWorkP2pii, 449

	.type	__hip_cuid_5419f551905879fb,@object ; @__hip_cuid_5419f551905879fb
	.section	.bss,"aw",@nobits
	.globl	__hip_cuid_5419f551905879fb
__hip_cuid_5419f551905879fb:
	.byte	0                               ; 0x0
	.size	__hip_cuid_5419f551905879fb, 1

	.ident	"AMD clang version 22.0.0git (https://github.com/RadeonOpenCompute/llvm-project roc-7.2.4 26084 f58b06dce1f9c15707c5f808fd002e18c2accf7e)"
	.section	".note.GNU-stack","",@progbits
	.addrsig
	.addrsig_sym _Z42ncclDevFunc_Broadcast_RING_LL_Sum_i8_0_0_1v
	.addrsig_sym _Z46ncclDevFunc_Broadcast_RING_SIMPLE_Sum_i8_0_0_1v
	.addrsig_sym _Z42ncclDevFunc_Broadcast_RING_LL_Sum_i8_0_0_2v
	.addrsig_sym _Z46ncclDevFunc_Broadcast_RING_SIMPLE_Sum_i8_0_0_2v
	.addrsig_sym _Z42ncclDevFunc_Broadcast_RING_LL_Sum_i8_0_0_4v
	.addrsig_sym _Z46ncclDevFunc_Broadcast_RING_SIMPLE_Sum_i8_0_0_4v
	.addrsig_sym ncclShmem
	.addrsig_sym __hip_cuid_5419f551905879fb
	.amdgpu_metadata
---
amdhsa.kernels:  []
amdhsa.target:   amdgcn-amd-amdhsa--gfx950
amdhsa.version:
  - 1
  - 2
...

	.end_amdgpu_metadata
